;; amdgpu-corpus repo=ROCm/rocFFT kind=compiled arch=gfx1030 opt=O3
	.text
	.amdgcn_target "amdgcn-amd-amdhsa--gfx1030"
	.amdhsa_code_object_version 6
	.protected	fft_rtc_fwd_len1728_factors_3_6_6_16_wgs_108_tpt_108_halfLds_dp_ip_CI_sbrr_dirReg ; -- Begin function fft_rtc_fwd_len1728_factors_3_6_6_16_wgs_108_tpt_108_halfLds_dp_ip_CI_sbrr_dirReg
	.globl	fft_rtc_fwd_len1728_factors_3_6_6_16_wgs_108_tpt_108_halfLds_dp_ip_CI_sbrr_dirReg
	.p2align	8
	.type	fft_rtc_fwd_len1728_factors_3_6_6_16_wgs_108_tpt_108_halfLds_dp_ip_CI_sbrr_dirReg,@function
fft_rtc_fwd_len1728_factors_3_6_6_16_wgs_108_tpt_108_halfLds_dp_ip_CI_sbrr_dirReg: ; @fft_rtc_fwd_len1728_factors_3_6_6_16_wgs_108_tpt_108_halfLds_dp_ip_CI_sbrr_dirReg
; %bb.0:
	s_clause 0x2
	s_load_dwordx2 s[14:15], s[4:5], 0x18
	s_load_dwordx4 s[8:11], s[4:5], 0x0
	s_load_dwordx2 s[12:13], s[4:5], 0x50
	v_mul_u32_u24_e32 v1, 0x25f, v0
	v_mov_b32_e32 v3, 0
	v_add_nc_u32_sdwa v5, s6, v1 dst_sel:DWORD dst_unused:UNUSED_PAD src0_sel:DWORD src1_sel:WORD_1
	v_mov_b32_e32 v1, 0
	v_mov_b32_e32 v6, v3
	v_mov_b32_e32 v2, 0
	s_waitcnt lgkmcnt(0)
	s_load_dwordx2 s[2:3], s[14:15], 0x0
	v_cmp_lt_u64_e64 s0, s[10:11], 2
	s_and_b32 vcc_lo, exec_lo, s0
	s_cbranch_vccnz .LBB0_8
; %bb.1:
	s_load_dwordx2 s[0:1], s[4:5], 0x10
	v_mov_b32_e32 v1, 0
	s_add_u32 s6, s14, 8
	v_mov_b32_e32 v2, 0
	s_addc_u32 s7, s15, 0
	s_mov_b64 s[18:19], 1
	s_waitcnt lgkmcnt(0)
	s_add_u32 s16, s0, 8
	s_addc_u32 s17, s1, 0
.LBB0_2:                                ; =>This Inner Loop Header: Depth=1
	s_load_dwordx2 s[20:21], s[16:17], 0x0
                                        ; implicit-def: $vgpr7_vgpr8
	s_mov_b32 s0, exec_lo
	s_waitcnt lgkmcnt(0)
	v_or_b32_e32 v4, s21, v6
	v_cmpx_ne_u64_e32 0, v[3:4]
	s_xor_b32 s1, exec_lo, s0
	s_cbranch_execz .LBB0_4
; %bb.3:                                ;   in Loop: Header=BB0_2 Depth=1
	v_cvt_f32_u32_e32 v4, s20
	v_cvt_f32_u32_e32 v7, s21
	s_sub_u32 s0, 0, s20
	s_subb_u32 s22, 0, s21
	v_fmac_f32_e32 v4, 0x4f800000, v7
	v_rcp_f32_e32 v4, v4
	v_mul_f32_e32 v4, 0x5f7ffffc, v4
	v_mul_f32_e32 v7, 0x2f800000, v4
	v_trunc_f32_e32 v7, v7
	v_fmac_f32_e32 v4, 0xcf800000, v7
	v_cvt_u32_f32_e32 v7, v7
	v_cvt_u32_f32_e32 v4, v4
	v_mul_lo_u32 v8, s0, v7
	v_mul_hi_u32 v9, s0, v4
	v_mul_lo_u32 v10, s22, v4
	v_add_nc_u32_e32 v8, v9, v8
	v_mul_lo_u32 v9, s0, v4
	v_add_nc_u32_e32 v8, v8, v10
	v_mul_hi_u32 v10, v4, v9
	v_mul_lo_u32 v11, v4, v8
	v_mul_hi_u32 v12, v4, v8
	v_mul_hi_u32 v13, v7, v9
	v_mul_lo_u32 v9, v7, v9
	v_mul_hi_u32 v14, v7, v8
	v_mul_lo_u32 v8, v7, v8
	v_add_co_u32 v10, vcc_lo, v10, v11
	v_add_co_ci_u32_e32 v11, vcc_lo, 0, v12, vcc_lo
	v_add_co_u32 v9, vcc_lo, v10, v9
	v_add_co_ci_u32_e32 v9, vcc_lo, v11, v13, vcc_lo
	v_add_co_ci_u32_e32 v10, vcc_lo, 0, v14, vcc_lo
	v_add_co_u32 v8, vcc_lo, v9, v8
	v_add_co_ci_u32_e32 v9, vcc_lo, 0, v10, vcc_lo
	v_add_co_u32 v4, vcc_lo, v4, v8
	v_add_co_ci_u32_e32 v7, vcc_lo, v7, v9, vcc_lo
	v_mul_hi_u32 v8, s0, v4
	v_mul_lo_u32 v10, s22, v4
	v_mul_lo_u32 v9, s0, v7
	v_add_nc_u32_e32 v8, v8, v9
	v_mul_lo_u32 v9, s0, v4
	v_add_nc_u32_e32 v8, v8, v10
	v_mul_hi_u32 v10, v4, v9
	v_mul_lo_u32 v11, v4, v8
	v_mul_hi_u32 v12, v4, v8
	v_mul_hi_u32 v13, v7, v9
	v_mul_lo_u32 v9, v7, v9
	v_mul_hi_u32 v14, v7, v8
	v_mul_lo_u32 v8, v7, v8
	v_add_co_u32 v10, vcc_lo, v10, v11
	v_add_co_ci_u32_e32 v11, vcc_lo, 0, v12, vcc_lo
	v_add_co_u32 v9, vcc_lo, v10, v9
	v_add_co_ci_u32_e32 v9, vcc_lo, v11, v13, vcc_lo
	v_add_co_ci_u32_e32 v10, vcc_lo, 0, v14, vcc_lo
	v_add_co_u32 v8, vcc_lo, v9, v8
	v_add_co_ci_u32_e32 v9, vcc_lo, 0, v10, vcc_lo
	v_add_co_u32 v4, vcc_lo, v4, v8
	v_add_co_ci_u32_e32 v11, vcc_lo, v7, v9, vcc_lo
	v_mul_hi_u32 v13, v5, v4
	v_mad_u64_u32 v[9:10], null, v6, v4, 0
	v_mad_u64_u32 v[7:8], null, v5, v11, 0
	;; [unrolled: 1-line block ×3, first 2 shown]
	v_add_co_u32 v4, vcc_lo, v13, v7
	v_add_co_ci_u32_e32 v7, vcc_lo, 0, v8, vcc_lo
	v_add_co_u32 v4, vcc_lo, v4, v9
	v_add_co_ci_u32_e32 v4, vcc_lo, v7, v10, vcc_lo
	v_add_co_ci_u32_e32 v7, vcc_lo, 0, v12, vcc_lo
	v_add_co_u32 v4, vcc_lo, v4, v11
	v_add_co_ci_u32_e32 v9, vcc_lo, 0, v7, vcc_lo
	v_mul_lo_u32 v10, s21, v4
	v_mad_u64_u32 v[7:8], null, s20, v4, 0
	v_mul_lo_u32 v11, s20, v9
	v_sub_co_u32 v7, vcc_lo, v5, v7
	v_add3_u32 v8, v8, v11, v10
	v_sub_nc_u32_e32 v10, v6, v8
	v_subrev_co_ci_u32_e64 v10, s0, s21, v10, vcc_lo
	v_add_co_u32 v11, s0, v4, 2
	v_add_co_ci_u32_e64 v12, s0, 0, v9, s0
	v_sub_co_u32 v13, s0, v7, s20
	v_sub_co_ci_u32_e32 v8, vcc_lo, v6, v8, vcc_lo
	v_subrev_co_ci_u32_e64 v10, s0, 0, v10, s0
	v_cmp_le_u32_e32 vcc_lo, s20, v13
	v_cmp_eq_u32_e64 s0, s21, v8
	v_cndmask_b32_e64 v13, 0, -1, vcc_lo
	v_cmp_le_u32_e32 vcc_lo, s21, v10
	v_cndmask_b32_e64 v14, 0, -1, vcc_lo
	v_cmp_le_u32_e32 vcc_lo, s20, v7
	;; [unrolled: 2-line block ×3, first 2 shown]
	v_cndmask_b32_e64 v15, 0, -1, vcc_lo
	v_cmp_eq_u32_e32 vcc_lo, s21, v10
	v_cndmask_b32_e64 v7, v15, v7, s0
	v_cndmask_b32_e32 v10, v14, v13, vcc_lo
	v_add_co_u32 v13, vcc_lo, v4, 1
	v_add_co_ci_u32_e32 v14, vcc_lo, 0, v9, vcc_lo
	v_cmp_ne_u32_e32 vcc_lo, 0, v10
	v_cndmask_b32_e32 v8, v14, v12, vcc_lo
	v_cndmask_b32_e32 v10, v13, v11, vcc_lo
	v_cmp_ne_u32_e32 vcc_lo, 0, v7
	v_cndmask_b32_e32 v8, v9, v8, vcc_lo
	v_cndmask_b32_e32 v7, v4, v10, vcc_lo
.LBB0_4:                                ;   in Loop: Header=BB0_2 Depth=1
	s_andn2_saveexec_b32 s0, s1
	s_cbranch_execz .LBB0_6
; %bb.5:                                ;   in Loop: Header=BB0_2 Depth=1
	v_cvt_f32_u32_e32 v4, s20
	s_sub_i32 s1, 0, s20
	v_rcp_iflag_f32_e32 v4, v4
	v_mul_f32_e32 v4, 0x4f7ffffe, v4
	v_cvt_u32_f32_e32 v4, v4
	v_mul_lo_u32 v7, s1, v4
	v_mul_hi_u32 v7, v4, v7
	v_add_nc_u32_e32 v4, v4, v7
	v_mul_hi_u32 v4, v5, v4
	v_mul_lo_u32 v7, v4, s20
	v_add_nc_u32_e32 v8, 1, v4
	v_sub_nc_u32_e32 v7, v5, v7
	v_subrev_nc_u32_e32 v9, s20, v7
	v_cmp_le_u32_e32 vcc_lo, s20, v7
	v_cndmask_b32_e32 v7, v7, v9, vcc_lo
	v_cndmask_b32_e32 v4, v4, v8, vcc_lo
	v_cmp_le_u32_e32 vcc_lo, s20, v7
	v_add_nc_u32_e32 v8, 1, v4
	v_cndmask_b32_e32 v7, v4, v8, vcc_lo
	v_mov_b32_e32 v8, v3
.LBB0_6:                                ;   in Loop: Header=BB0_2 Depth=1
	s_or_b32 exec_lo, exec_lo, s0
	s_load_dwordx2 s[0:1], s[6:7], 0x0
	v_mul_lo_u32 v4, v8, s20
	v_mul_lo_u32 v11, v7, s21
	v_mad_u64_u32 v[9:10], null, v7, s20, 0
	s_add_u32 s18, s18, 1
	s_addc_u32 s19, s19, 0
	s_add_u32 s6, s6, 8
	s_addc_u32 s7, s7, 0
	;; [unrolled: 2-line block ×3, first 2 shown]
	v_add3_u32 v4, v10, v11, v4
	v_sub_co_u32 v5, vcc_lo, v5, v9
	v_sub_co_ci_u32_e32 v4, vcc_lo, v6, v4, vcc_lo
	s_waitcnt lgkmcnt(0)
	v_mul_lo_u32 v6, s1, v5
	v_mul_lo_u32 v4, s0, v4
	v_mad_u64_u32 v[1:2], null, s0, v5, v[1:2]
	v_cmp_ge_u64_e64 s0, s[18:19], s[10:11]
	s_and_b32 vcc_lo, exec_lo, s0
	v_add3_u32 v2, v6, v2, v4
	s_cbranch_vccnz .LBB0_9
; %bb.7:                                ;   in Loop: Header=BB0_2 Depth=1
	v_mov_b32_e32 v5, v7
	v_mov_b32_e32 v6, v8
	s_branch .LBB0_2
.LBB0_8:
	v_mov_b32_e32 v8, v6
	v_mov_b32_e32 v7, v5
.LBB0_9:
	s_lshl_b64 s[0:1], s[10:11], 3
	v_mul_hi_u32 v3, 0x25ed098, v0
	s_add_u32 s0, s14, s0
	s_addc_u32 s1, s15, s1
	s_load_dwordx2 s[4:5], s[4:5], 0x20
	s_load_dwordx2 s[0:1], s[0:1], 0x0
	v_mul_u32_u24_e32 v3, 0x6c, v3
	v_sub_nc_u32_e32 v111, v0, v3
	v_add_nc_u32_e32 v117, 0x6c, v111
	v_add_nc_u32_e32 v116, 0xd8, v111
	;; [unrolled: 1-line block ×4, first 2 shown]
	s_waitcnt lgkmcnt(0)
	v_cmp_gt_u64_e32 vcc_lo, s[4:5], v[7:8]
	v_mul_lo_u32 v3, s0, v8
	v_mul_lo_u32 v4, s1, v7
	v_mad_u64_u32 v[0:1], null, s0, v7, v[1:2]
	v_cmp_le_u64_e64 s0, s[4:5], v[7:8]
                                        ; implicit-def: $sgpr4
	v_add3_u32 v1, v4, v1, v3
	s_and_saveexec_b32 s1, s0
	s_xor_b32 s0, exec_lo, s1
; %bb.10:
	v_add_nc_u32_e32 v117, 0x6c, v111
	v_add_nc_u32_e32 v116, 0xd8, v111
	;; [unrolled: 1-line block ×4, first 2 shown]
	s_mov_b32 s4, 0
; %bb.11:
	s_or_saveexec_b32 s1, s0
	v_lshlrev_b64 v[92:93], 4, v[0:1]
	v_mov_b32_e32 v110, s4
                                        ; implicit-def: $vgpr10_vgpr11
                                        ; implicit-def: $vgpr2_vgpr3
                                        ; implicit-def: $vgpr6_vgpr7
                                        ; implicit-def: $vgpr30_vgpr31
                                        ; implicit-def: $vgpr18_vgpr19
                                        ; implicit-def: $vgpr38_vgpr39
                                        ; implicit-def: $vgpr42_vgpr43
                                        ; implicit-def: $vgpr62_vgpr63
                                        ; implicit-def: $vgpr50_vgpr51
                                        ; implicit-def: $vgpr66_vgpr67
                                        ; implicit-def: $vgpr70_vgpr71
                                        ; implicit-def: $vgpr54_vgpr55
                                        ; implicit-def: $vgpr74_vgpr75
                                        ; implicit-def: $vgpr82_vgpr83
                                        ; implicit-def: $vgpr78_vgpr79
                                        ; implicit-def: $vgpr58_vgpr59
                                        ; implicit-def: $vgpr46_vgpr47
                                        ; implicit-def: $vgpr14_vgpr15
	s_xor_b32 exec_lo, exec_lo, s1
	s_cbranch_execz .LBB0_15
; %bb.12:
	v_add_nc_u32_e32 v10, 0x240, v111
	v_mad_u64_u32 v[0:1], null, s2, v111, 0
	v_mad_u64_u32 v[4:5], null, s2, v117, 0
	;; [unrolled: 1-line block ×3, first 2 shown]
	v_or_b32_e32 v11, 0x480, v111
	v_add_nc_u32_e32 v12, 0x2ac, v111
	v_add_nc_u32_e32 v28, 0x318, v111
	v_mad_u64_u32 v[22:23], null, s2, v116, 0
	v_mad_u64_u32 v[6:7], null, s2, v11, 0
	;; [unrolled: 1-line block ×5, first 2 shown]
	v_add_nc_u32_e32 v31, 0x558, v111
	v_add_co_u32 v20, s0, s12, v92
	v_mov_b32_e32 v1, v8
	v_mov_b32_e32 v3, v9
	v_mad_u64_u32 v[8:9], null, s3, v117, v[5:6]
	v_add_co_ci_u32_e64 v21, s0, s13, v93, s0
	v_lshlrev_b64 v[0:1], 4, v[0:1]
	v_lshlrev_b64 v[2:3], 4, v[2:3]
	v_add_nc_u32_e32 v35, 0x384, v111
	v_mad_u64_u32 v[40:41], null, s2, v113, 0
	v_mad_u64_u32 v[9:10], null, s3, v11, v[7:8]
	v_add_nc_u32_e32 v10, 0x4ec, v111
	v_mov_b32_e32 v5, v8
	v_mov_b32_e32 v8, v17
	v_add_co_u32 v0, s0, v20, v0
	v_mad_u64_u32 v[18:19], null, s2, v10, 0
	v_mov_b32_e32 v7, v9
	v_mad_u64_u32 v[8:9], null, s3, v12, v[8:9]
	v_add_co_ci_u32_e64 v1, s0, v21, v1, s0
	v_lshlrev_b64 v[6:7], 4, v[6:7]
	v_mov_b32_e32 v9, v19
	v_add_co_u32 v2, s0, v20, v2
	v_mov_b32_e32 v17, v8
	v_lshlrev_b64 v[4:5], 4, v[4:5]
	v_mad_u64_u32 v[24:25], null, s3, v10, v[9:10]
	v_add_co_ci_u32_e64 v3, s0, v21, v3, s0
	v_add_co_u32 v6, s0, v20, v6
	v_lshlrev_b64 v[16:17], 4, v[16:17]
	v_add_co_ci_u32_e64 v7, s0, v21, v7, s0
	v_mov_b32_e32 v19, v24
	v_mad_u64_u32 v[24:25], null, s2, v28, 0
	v_add_co_u32 v4, s0, v20, v4
	v_lshlrev_b64 v[18:19], 4, v[18:19]
	v_add_co_ci_u32_e64 v5, s0, v21, v5, s0
	v_add_co_u32 v16, s0, v20, v16
	v_mad_u64_u32 v[26:27], null, s3, v116, v[23:24]
	v_add_co_ci_u32_e64 v17, s0, v21, v17, s0
	v_add_co_u32 v18, s0, v20, v18
	v_add_co_ci_u32_e64 v19, s0, v21, v19, s0
	v_mov_b32_e32 v23, v26
	v_mad_u64_u32 v[26:27], null, s2, v31, 0
	v_add_nc_u32_e32 v37, 0x3f0, v111
	v_add_nc_u32_e32 v54, 0x630, v111
	v_lshlrev_b64 v[22:23], 4, v[22:23]
	s_clause 0x3
	global_load_dwordx4 v[12:15], v[0:1], off
	global_load_dwordx4 v[8:11], v[2:3], off
	;; [unrolled: 1-line block ×4, first 2 shown]
	s_mov_b32 s4, exec_lo
	v_mad_u64_u32 v[42:43], null, s2, v37, 0
	v_mad_u64_u32 v[28:29], null, s3, v28, v[25:26]
	;; [unrolled: 1-line block ×3, first 2 shown]
	v_add_co_u32 v22, s0, v20, v22
	v_add_co_ci_u32_e64 v23, s0, v21, v23, s0
	v_mov_b32_e32 v25, v28
	v_mad_u64_u32 v[27:28], null, s3, v31, v[27:28]
	v_mov_b32_e32 v28, v30
	v_mad_u64_u32 v[31:32], null, s2, v35, 0
	v_lshlrev_b64 v[24:25], 4, v[24:25]
	v_mad_u64_u32 v[52:53], null, s2, v54, 0
	v_mad_u64_u32 v[33:34], null, s3, v112, v[28:29]
	v_lshlrev_b64 v[26:27], 4, v[26:27]
	v_mov_b32_e32 v28, v32
	v_add_co_u32 v24, s0, v20, v24
	v_add_co_ci_u32_e64 v25, s0, v21, v25, s0
	v_mov_b32_e32 v30, v33
	v_mad_u64_u32 v[32:33], null, s3, v35, v[28:29]
	v_add_nc_u32_e32 v35, 0x5c4, v111
	v_add_co_u32 v26, s0, v20, v26
	v_lshlrev_b64 v[28:29], 4, v[29:30]
	v_add_co_ci_u32_e64 v27, s0, v21, v27, s0
	v_mad_u64_u32 v[33:34], null, s2, v35, 0
                                        ; implicit-def: $vgpr76_vgpr77
                                        ; implicit-def: $vgpr80_vgpr81
                                        ; implicit-def: $vgpr72_vgpr73
	v_add_co_u32 v48, s0, v20, v28
	v_add_co_ci_u32_e64 v49, s0, v21, v29, s0
	v_lshlrev_b64 v[29:30], 4, v[31:32]
	v_mov_b32_e32 v28, v34
	v_mov_b32_e32 v31, v41
	v_mad_u64_u32 v[34:35], null, s3, v35, v[28:29]
	v_mad_u64_u32 v[35:36], null, s3, v113, v[31:32]
	v_mov_b32_e32 v32, v43
	v_add_co_u32 v50, s0, v20, v29
	v_add_co_ci_u32_e64 v51, s0, v21, v30, s0
	s_clause 0x1
	global_load_dwordx4 v[28:31], v[16:17], off
	global_load_dwordx4 v[16:19], v[18:19], off
	v_mov_b32_e32 v41, v35
	v_mad_u64_u32 v[35:36], null, s3, v37, v[32:33]
	v_mov_b32_e32 v32, v53
	s_clause 0x1
	global_load_dwordx4 v[44:47], v[22:23], off
	global_load_dwordx4 v[36:39], v[24:25], off
	v_lshlrev_b64 v[22:23], 4, v[33:34]
	v_mad_u64_u32 v[24:25], null, s3, v54, v[32:33]
	v_lshlrev_b64 v[32:33], 4, v[40:41]
	v_mov_b32_e32 v43, v35
	v_add_co_u32 v22, s0, v20, v22
	v_add_co_ci_u32_e64 v23, s0, v21, v23, s0
	v_mov_b32_e32 v53, v24
	v_lshlrev_b64 v[34:35], 4, v[42:43]
	v_add_co_u32 v24, s0, v20, v32
	v_add_co_ci_u32_e64 v25, s0, v21, v33, s0
	v_lshlrev_b64 v[32:33], 4, v[52:53]
	v_add_co_u32 v34, s0, v20, v34
	v_add_co_ci_u32_e64 v35, s0, v21, v35, s0
	v_add_co_u32 v32, s0, v20, v32
	v_add_co_ci_u32_e64 v33, s0, v21, v33, s0
	s_clause 0x6
	global_load_dwordx4 v[40:43], v[26:27], off
	global_load_dwordx4 v[56:59], v[48:49], off
	;; [unrolled: 1-line block ×7, first 2 shown]
	v_cmpx_gt_u32_e32 36, v111
	s_cbranch_execz .LBB0_14
; %bb.13:
	v_add_nc_u32_e32 v32, 0x21c, v111
	v_add_nc_u32_e32 v34, 0x45c, v111
	v_add_nc_u32_e32 v35, 0x69c, v111
	v_mad_u64_u32 v[22:23], null, s2, v32, 0
	v_mad_u64_u32 v[24:25], null, s2, v34, 0
	;; [unrolled: 1-line block ×5, first 2 shown]
	s_waitcnt vmcnt(10)
	v_mad_u64_u32 v[34:35], null, s3, v35, v[27:28]
	v_mov_b32_e32 v23, v32
	v_mov_b32_e32 v25, v33
	;; [unrolled: 1-line block ×3, first 2 shown]
	v_lshlrev_b64 v[22:23], 4, v[22:23]
	v_lshlrev_b64 v[24:25], 4, v[24:25]
	v_lshlrev_b64 v[26:27], 4, v[26:27]
	v_add_co_u32 v22, s0, v20, v22
	v_add_co_ci_u32_e64 v23, s0, v21, v23, s0
	v_add_co_u32 v24, s0, v20, v24
	v_add_co_ci_u32_e64 v25, s0, v21, v25, s0
	;; [unrolled: 2-line block ×3, first 2 shown]
	s_clause 0x2
	global_load_dwordx4 v[76:79], v[22:23], off
	global_load_dwordx4 v[80:83], v[24:25], off
	;; [unrolled: 1-line block ×3, first 2 shown]
.LBB0_14:
	s_or_b32 exec_lo, exec_lo, s4
	v_mov_b32_e32 v110, v111
.LBB0_15:
	s_or_b32 exec_lo, exec_lo, s1
	s_waitcnt vmcnt(12)
	v_add_f64 v[20:21], v[8:9], v[0:1]
	s_waitcnt vmcnt(9)
	v_add_f64 v[22:23], v[28:29], v[16:17]
	;; [unrolled: 2-line block ×5, first 2 shown]
	v_add_f64 v[34:35], v[72:73], v[80:81]
	v_add_f64 v[84:85], v[8:9], v[12:13]
	v_add_f64 v[86:87], v[10:11], -v[2:3]
	v_add_f64 v[88:89], v[4:5], v[28:29]
	v_add_f64 v[94:95], v[60:61], v[56:57]
	;; [unrolled: 1-line block ×4, first 2 shown]
	v_add_f64 v[100:101], v[62:63], -v[50:51]
	v_add_f64 v[102:103], v[82:83], -v[74:75]
	v_add_f64 v[90:91], v[36:37], v[44:45]
	s_mov_b32 s0, 0xe8584caa
	s_mov_b32 s1, 0x3febb67a
	;; [unrolled: 1-line block ×4, first 2 shown]
	v_fma_f64 v[12:13], v[20:21], -0.5, v[12:13]
	v_fma_f64 v[4:5], v[22:23], -0.5, v[4:5]
	v_add_f64 v[22:23], v[38:39], -v[42:43]
	v_fma_f64 v[24:25], v[24:25], -0.5, v[44:45]
	v_fma_f64 v[26:27], v[26:27], -0.5, v[56:57]
	v_add_f64 v[56:57], v[70:71], -v[54:55]
	;; [unrolled: 3-line block ×3, first 2 shown]
	v_add_f64 v[84:85], v[0:1], v[84:85]
	v_add_f64 v[44:45], v[96:97], v[52:53]
	;; [unrolled: 1-line block ×6, first 2 shown]
	v_fma_f64 v[96:97], v[86:87], s[0:1], v[12:13]
	v_fma_f64 v[12:13], v[86:87], s[4:5], v[12:13]
	;; [unrolled: 1-line block ×12, first 2 shown]
	v_mad_u32_u24 v5, v111, 24, 0
	v_mad_i32_i24 v4, v117, 24, 0
	v_mad_i32_i24 v102, v116, 24, 0
	v_cmp_gt_u32_e64 s1, 36, v111
	v_mad_i32_i24 v32, v112, 24, 0
	v_mad_i32_i24 v33, v113, 24, 0
	ds_write2_b64 v5, v[84:85], v[96:97] offset1:1
	ds_write_b64 v5, v[12:13] offset:16
	ds_write2_b64 v4, v[88:89], v[86:87] offset1:1
	ds_write_b64 v4, v[20:21] offset:16
	;; [unrolled: 2-line block ×5, first 2 shown]
	s_and_saveexec_b32 s0, s1
	s_cbranch_execz .LBB0_17
; %bb.16:
	v_add_nc_u32_e32 v12, 0x32a0, v5
	ds_write2_b64 v12, v[98:99], v[64:65] offset1:1
	ds_write_b64 v5, v[100:101] offset:12976
.LBB0_17:
	s_or_b32 exec_lo, exec_lo, s0
	v_lshlrev_b32_e32 v12, 4, v111
	v_lshlrev_b32_e32 v104, 4, v117
	s_waitcnt lgkmcnt(0)
	s_barrier
	buffer_gl0_inv
	v_sub_nc_u32_e32 v114, v5, v12
	v_sub_nc_u32_e32 v12, v4, v104
	v_cmp_gt_u32_e64 s0, 0x48, v111
	v_lshlrev_b32_e32 v103, 4, v116
	v_add_nc_u32_e32 v13, 0x800, v114
	v_add_nc_u32_e32 v20, 0x1000, v114
	;; [unrolled: 1-line block ×5, first 2 shown]
	ds_read2_b64 v[32:35], v13 offset0:32 offset1:140
	ds_read2_b64 v[24:27], v20 offset0:64 offset1:172
	;; [unrolled: 1-line block ×5, first 2 shown]
	ds_read_b64 v[94:95], v114
	ds_read_b64 v[96:97], v12
	v_mul_i32_i24_e32 v13, 24, v112
	v_mul_i32_i24_e32 v12, 24, v113
	s_and_saveexec_b32 s4, s0
	s_cbranch_execz .LBB0_19
; %bb.18:
	v_sub_nc_u32_e32 v44, v102, v103
	ds_read_b64 v[76:77], v114 offset:4032
	ds_read_b64 v[56:57], v114 offset:6336
	;; [unrolled: 1-line block ×4, first 2 shown]
	ds_read_b64 v[44:45], v44
	ds_read_b64 v[100:101], v114 offset:13248
.LBB0_19:
	s_or_b32 exec_lo, exec_lo, s4
	v_add_f64 v[105:106], v[10:11], v[2:3]
	v_add_f64 v[118:119], v[38:39], v[42:43]
	;; [unrolled: 1-line block ×7, first 2 shown]
	v_add_f64 v[0:1], v[8:9], -v[0:1]
	v_add_f64 v[8:9], v[6:7], v[30:31]
	v_add_f64 v[30:31], v[38:39], v[46:47]
	;; [unrolled: 1-line block ×5, first 2 shown]
	v_add_f64 v[36:37], v[36:37], -v[40:41]
	v_add_f64 v[48:49], v[60:61], -v[48:49]
	;; [unrolled: 1-line block ×4, first 2 shown]
	s_mov_b32 s4, 0xe8584caa
	s_mov_b32 s5, 0xbfebb67a
	;; [unrolled: 1-line block ×4, first 2 shown]
	s_waitcnt lgkmcnt(0)
	v_fma_f64 v[14:15], v[105:106], -0.5, v[14:15]
	v_fma_f64 v[40:41], v[118:119], -0.5, v[46:47]
	;; [unrolled: 1-line block ×4, first 2 shown]
	v_add_f64 v[66:67], v[80:81], -v[72:73]
	v_fma_f64 v[68:69], v[124:125], -0.5, v[78:79]
	v_fma_f64 v[6:7], v[107:108], -0.5, v[6:7]
	v_add_f64 v[2:3], v[2:3], v[10:11]
	v_add_f64 v[8:9], v[8:9], v[18:19]
	;; [unrolled: 1-line block ×6, first 2 shown]
	s_barrier
	buffer_gl0_inv
	v_add_nc_u32_e32 v12, 0, v12
	v_fma_f64 v[30:31], v[0:1], s[4:5], v[14:15]
	v_fma_f64 v[50:51], v[36:37], s[4:5], v[40:41]
	;; [unrolled: 1-line block ×12, first 2 shown]
	v_sub_nc_u32_e32 v6, 0, v104
	v_add_nc_u32_e32 v7, 0, v13
	ds_write2_b64 v5, v[2:3], v[30:31] offset1:1
	ds_write_b64 v5, v[0:1] offset:16
	ds_write2_b64 v4, v[8:9], v[14:15] offset1:1
	ds_write_b64 v4, v[16:17] offset:16
	;; [unrolled: 2-line block ×5, first 2 shown]
	s_and_saveexec_b32 s4, s1
	s_cbranch_execz .LBB0_21
; %bb.20:
	v_add_nc_u32_e32 v0, 0x21c, v111
	v_mad_u32_u24 v0, v0, 24, 0
	ds_write2_b64 v0, v[46:47], v[40:41] offset1:1
	ds_write_b64 v0, v[48:49] offset:16
.LBB0_21:
	s_or_b32 exec_lo, exec_lo, s4
	v_add_nc_u32_e32 v0, 0x800, v114
	v_add_nc_u32_e32 v1, 0x1000, v114
	;; [unrolled: 1-line block ×6, first 2 shown]
	s_waitcnt lgkmcnt(0)
	s_barrier
	buffer_gl0_inv
	ds_read2_b64 v[8:11], v0 offset0:32 offset1:140
	ds_read2_b64 v[0:3], v1 offset0:64 offset1:172
	ds_read2_b64 v[16:19], v5 offset0:96 offset1:204
	ds_read2_b64 v[4:7], v7 offset0:128 offset1:236
	ds_read2_b64 v[12:15], v12 offset0:32 offset1:140
	ds_read_b64 v[36:37], v114
	ds_read_b64 v[30:31], v115
	s_and_saveexec_b32 s1, s0
	s_cbranch_execz .LBB0_23
; %bb.22:
	v_sub_nc_u32_e32 v28, v102, v103
	ds_read_b64 v[42:43], v114 offset:4032
	ds_read_b64 v[38:39], v114 offset:6336
	;; [unrolled: 1-line block ×4, first 2 shown]
	ds_read_b64 v[28:29], v28
	ds_read_b64 v[48:49], v114 offset:13248
.LBB0_23:
	s_or_b32 exec_lo, exec_lo, s1
	v_and_b32_e32 v120, 0xff, v111
	v_and_b32_e32 v119, 0xff, v117
	v_mov_b32_e32 v54, 5
	s_mov_b32 s4, 0xe8584caa
	s_mov_b32 s5, 0x3febb67a
	v_mul_lo_u16 v50, 0xab, v120
	v_mul_lo_u16 v51, 0xab, v119
	s_mov_b32 s7, 0xbfebb67a
	s_mov_b32 s6, s4
	v_lshrrev_b16 v118, 9, v50
	v_lshrrev_b16 v160, 9, v51
	v_mul_lo_u16 v50, v118, 3
	v_mul_lo_u16 v51, v160, 3
	v_sub_nc_u16 v161, v111, v50
	v_sub_nc_u16 v162, v117, v51
	v_mov_b32_e32 v50, 0xaaab
	v_mul_u32_u24_sdwa v51, v161, v54 dst_sel:DWORD dst_unused:UNUSED_PAD src0_sel:BYTE_0 src1_sel:DWORD
	v_mul_u32_u24_sdwa v52, v162, v54 dst_sel:DWORD dst_unused:UNUSED_PAD src0_sel:BYTE_0 src1_sel:DWORD
	v_mul_u32_u24_sdwa v50, v116, v50 dst_sel:DWORD dst_unused:UNUSED_PAD src0_sel:WORD_0 src1_sel:DWORD
	v_lshlrev_b32_e32 v55, 4, v51
	v_lshlrev_b32_e32 v62, 4, v52
	v_lshrrev_b32_e32 v163, 17, v50
	s_clause 0x1
	global_load_dwordx4 v[50:53], v55, s[8:9] offset:32
	global_load_dwordx4 v[58:61], v62, s[8:9] offset:32
	v_mul_lo_u16 v63, v163, 3
	v_sub_nc_u16 v121, v116, v63
	v_mul_u32_u24_sdwa v54, v121, v54 dst_sel:DWORD dst_unused:UNUSED_PAD src0_sel:WORD_0 src1_sel:DWORD
	v_lshlrev_b32_e32 v54, 4, v54
	s_clause 0xc
	global_load_dwordx4 v[66:69], v55, s[8:9] offset:64
	global_load_dwordx4 v[70:73], v62, s[8:9] offset:64
	;; [unrolled: 1-line block ×4, first 2 shown]
	global_load_dwordx4 v[106:109], v55, s[8:9]
	global_load_dwordx4 v[122:125], v62, s[8:9]
	;; [unrolled: 1-line block ×3, first 2 shown]
	global_load_dwordx4 v[130:133], v55, s[8:9] offset:16
	global_load_dwordx4 v[134:137], v62, s[8:9] offset:16
	;; [unrolled: 1-line block ×6, first 2 shown]
	s_waitcnt vmcnt(0) lgkmcnt(0)
	s_barrier
	buffer_gl0_inv
	v_mul_f64 v[54:55], v[16:17], v[52:53]
	v_mul_f64 v[52:53], v[88:89], v[52:53]
	;; [unrolled: 1-line block ×9, first 2 shown]
	v_fma_f64 v[54:55], v[88:89], v[50:51], -v[54:55]
	v_fma_f64 v[62:63], v[16:17], v[50:51], v[52:53]
	v_mul_f64 v[16:17], v[98:99], v[80:81]
	v_mul_f64 v[50:51], v[100:101], v[104:105]
	v_fma_f64 v[52:53], v[90:91], v[58:59], -v[74:75]
	v_mul_f64 v[74:75], v[48:49], v[104:105]
	v_mul_f64 v[80:81], v[8:9], v[108:109]
	v_fma_f64 v[68:69], v[18:19], v[58:59], v[60:61]
	v_mul_f64 v[18:19], v[32:33], v[108:109]
	v_mul_f64 v[88:89], v[10:11], v[124:125]
	;; [unrolled: 1-line block ×3, first 2 shown]
	v_fma_f64 v[58:59], v[12:13], v[66:67], v[154:155]
	v_fma_f64 v[12:13], v[84:85], v[66:67], -v[82:83]
	v_mul_f64 v[82:83], v[42:43], v[128:129]
	v_mul_f64 v[84:85], v[76:77], v[128:129]
	v_fma_f64 v[60:61], v[14:15], v[70:71], v[72:73]
	v_fma_f64 v[14:15], v[86:87], v[70:71], -v[156:157]
	v_fma_f64 v[104:105], v[98:99], v[78:79], -v[158:159]
	v_mul_f64 v[98:99], v[20:21], v[140:141]
	v_mul_f64 v[108:109], v[40:41], v[152:153]
	;; [unrolled: 1-line block ×3, first 2 shown]
	v_fma_f64 v[70:71], v[46:47], v[78:79], v[16:17]
	v_fma_f64 v[66:67], v[48:49], v[102:103], v[50:51]
	v_mul_f64 v[46:47], v[0:1], v[132:133]
	v_fma_f64 v[16:17], v[100:101], v[102:103], -v[74:75]
	v_mul_f64 v[48:49], v[24:25], v[132:133]
	v_mul_f64 v[50:51], v[2:3], v[136:137]
	;; [unrolled: 1-line block ×5, first 2 shown]
	v_fma_f64 v[128:129], v[32:33], v[106:107], -v[80:81]
	v_fma_f64 v[72:73], v[8:9], v[106:107], v[18:19]
	v_add_f64 v[8:9], v[62:63], v[58:59]
	v_fma_f64 v[106:107], v[34:35], v[122:123], -v[88:89]
	v_fma_f64 v[34:35], v[10:11], v[122:123], v[90:91]
	v_fma_f64 v[122:123], v[76:77], v[126:127], -v[82:83]
	v_fma_f64 v[32:33], v[42:43], v[126:127], v[84:85]
	v_add_f64 v[18:19], v[54:55], v[12:13]
	v_add_f64 v[10:11], v[68:69], v[60:61]
	;; [unrolled: 1-line block ×3, first 2 shown]
	v_mul_f64 v[74:75], v[26:27], v[136:137]
	v_mul_f64 v[88:89], v[56:57], v[148:149]
	;; [unrolled: 1-line block ×3, first 2 shown]
	v_add_f64 v[76:77], v[70:71], v[66:67]
	v_fma_f64 v[84:85], v[24:25], v[130:131], -v[46:47]
	v_add_f64 v[82:83], v[104:105], v[16:17]
	v_fma_f64 v[86:87], v[0:1], v[130:131], v[48:49]
	v_fma_f64 v[24:25], v[26:27], v[134:135], -v[50:51]
	v_fma_f64 v[90:91], v[20:21], v[138:139], -v[78:79]
	v_fma_f64 v[20:21], v[4:5], v[138:139], v[98:99]
	v_fma_f64 v[42:43], v[22:23], v[142:143], -v[100:101]
	v_fma_f64 v[22:23], v[56:57], v[146:147], -v[102:103]
	;; [unrolled: 1-line block ×3, first 2 shown]
	v_add_f64 v[4:5], v[54:55], -v[12:13]
	v_fma_f64 v[8:9], v[8:9], -0.5, v[72:73]
	v_add_f64 v[56:57], v[70:71], -v[66:67]
	v_add_f64 v[130:131], v[104:105], -v[16:17]
	;; [unrolled: 1-line block ×3, first 2 shown]
	v_fma_f64 v[18:19], v[18:19], -0.5, v[128:129]
	v_add_f64 v[48:49], v[52:53], -v[14:15]
	v_fma_f64 v[10:11], v[10:11], -0.5, v[34:35]
	v_add_f64 v[46:47], v[68:69], -v[60:61]
	v_fma_f64 v[50:51], v[80:81], -0.5, v[106:107]
	v_fma_f64 v[98:99], v[2:3], v[134:135], v[74:75]
	v_fma_f64 v[64:65], v[6:7], v[142:143], v[124:125]
	v_fma_f64 v[132:133], v[76:77], -0.5, v[32:33]
	v_fma_f64 v[100:101], v[38:39], v[146:147], v[88:89]
	v_fma_f64 v[136:137], v[82:83], -0.5, v[122:123]
	v_fma_f64 v[38:39], v[40:41], v[150:151], v[126:127]
	v_add_f64 v[124:125], v[94:95], v[84:85]
	v_add_f64 v[2:3], v[84:85], v[90:91]
	v_add_f64 v[126:127], v[86:87], -v[20:21]
	v_add_f64 v[6:7], v[24:25], v[42:43]
	v_add_f64 v[54:55], v[128:129], v[54:55]
	;; [unrolled: 1-line block ×4, first 2 shown]
	v_fma_f64 v[78:79], v[4:5], s[6:7], v[8:9]
	v_add_f64 v[52:53], v[106:107], v[52:53]
	v_add_f64 v[122:123], v[122:123], v[104:105]
	v_add_f64 v[138:139], v[44:45], v[22:23]
	v_fma_f64 v[88:89], v[0:1], s[6:7], v[18:19]
	v_fma_f64 v[102:103], v[0:1], s[4:5], v[18:19]
	;; [unrolled: 1-line block ×6, first 2 shown]
	v_add_f64 v[134:135], v[98:99], -v[64:65]
	v_fma_f64 v[76:77], v[130:131], s[6:7], v[132:133]
	v_fma_f64 v[106:107], v[48:49], s[4:5], v[10:11]
	;; [unrolled: 1-line block ×3, first 2 shown]
	v_add_f64 v[140:141], v[100:101], -v[38:39]
	v_add_f64 v[46:47], v[124:125], v[90:91]
	v_fma_f64 v[2:3], v[2:3], -0.5, v[94:95]
	v_fma_f64 v[94:95], v[56:57], s[4:5], v[136:137]
	v_fma_f64 v[6:7], v[6:7], -0.5, v[96:97]
	v_fma_f64 v[96:97], v[130:131], s[4:5], v[132:133]
	v_fma_f64 v[40:41], v[40:41], -0.5, v[44:45]
	v_add_f64 v[12:13], v[54:55], v[12:13]
	v_mul_f64 v[0:1], v[78:79], s[4:5]
	v_add_f64 v[48:49], v[128:129], v[42:43]
	v_add_f64 v[14:15], v[52:53], v[14:15]
	;; [unrolled: 1-line block ×3, first 2 shown]
	v_mul_f64 v[4:5], v[88:89], -0.5
	v_add_f64 v[16:17], v[122:123], v[16:17]
	v_mul_f64 v[8:9], v[74:75], s[4:5]
	v_mov_b32_e32 v136, 0x90
	v_mul_f64 v[10:11], v[80:81], -0.5
	v_mul_f64 v[18:19], v[76:77], s[4:5]
	v_mul_f64 v[44:45], v[82:83], -0.5
	v_fma_f64 v[52:53], v[126:127], s[4:5], v[2:3]
	v_fma_f64 v[2:3], v[126:127], s[6:7], v[2:3]
	;; [unrolled: 1-line block ×6, first 2 shown]
	v_fma_f64 v[0:1], v[102:103], 0.5, v[0:1]
	v_add_f64 v[126:127], v[46:47], v[12:13]
	v_add_f64 v[12:13], v[46:47], -v[12:13]
	v_add_f64 v[128:129], v[48:49], v[14:15]
	v_fma_f64 v[4:5], v[108:109], s[4:5], v[4:5]
	v_add_f64 v[14:15], v[48:49], -v[14:15]
	v_fma_f64 v[8:9], v[104:105], 0.5, v[8:9]
	v_add_f64 v[40:41], v[50:51], v[16:17]
	v_fma_f64 v[10:11], v[106:107], s[4:5], v[10:11]
	v_add_f64 v[50:51], v[50:51], -v[16:17]
	v_fma_f64 v[18:19], v[94:95], 0.5, v[18:19]
	v_fma_f64 v[124:125], v[96:97], s[4:5], v[44:45]
	v_add_f64 v[16:17], v[52:53], v[0:1]
	v_add_f64 v[132:133], v[52:53], -v[0:1]
	v_mov_b32_e32 v0, 3
	v_add_f64 v[130:131], v[2:3], v[4:5]
	v_add_f64 v[1:2], v[2:3], -v[4:5]
	v_add_f64 v[3:4], v[54:55], v[8:9]
	v_add_f64 v[8:9], v[54:55], -v[8:9]
	;; [unrolled: 2-line block ×3, first 2 shown]
	v_mul_u32_u24_sdwa v7, v118, v136 dst_sel:DWORD dst_unused:UNUSED_PAD src0_sel:WORD_0 src1_sel:DWORD
	v_add_f64 v[48:49], v[56:57], v[18:19]
	v_add_f64 v[46:47], v[56:57], -v[18:19]
	v_add_f64 v[44:45], v[122:123], v[124:125]
	v_add_f64 v[52:53], v[122:123], -v[124:125]
	v_mul_u32_u24_sdwa v10, v160, v136 dst_sel:DWORD dst_unused:UNUSED_PAD src0_sel:WORD_0 src1_sel:DWORD
	v_lshlrev_b32_sdwa v11, v0, v161 dst_sel:DWORD dst_unused:UNUSED_PAD src0_sel:DWORD src1_sel:BYTE_0
	v_lshlrev_b32_sdwa v18, v0, v162 dst_sel:DWORD dst_unused:UNUSED_PAD src0_sel:DWORD src1_sel:BYTE_0
	v_mul_lo_u16 v122, v163, 18
	v_add3_u32 v124, 0, v7, v11
	v_add3_u32 v123, 0, v10, v18
	ds_write2_b64 v124, v[126:127], v[16:17] offset1:3
	ds_write2_b64 v124, v[130:131], v[12:13] offset0:6 offset1:9
	ds_write2_b64 v124, v[132:133], v[1:2] offset0:12 offset1:15
	ds_write2_b64 v123, v[128:129], v[3:4] offset1:3
	ds_write2_b64 v123, v[134:135], v[14:15] offset0:6 offset1:9
	ds_write2_b64 v123, v[8:9], v[5:6] offset0:12 offset1:15
	s_and_saveexec_b32 s1, s0
	s_cbranch_execz .LBB0_25
; %bb.24:
	v_lshlrev_b32_sdwa v1, v0, v121 dst_sel:DWORD dst_unused:UNUSED_PAD src0_sel:DWORD src1_sel:WORD_0
	v_lshlrev_b32_sdwa v0, v0, v122 dst_sel:DWORD dst_unused:UNUSED_PAD src0_sel:DWORD src1_sel:WORD_0
	v_add3_u32 v0, 0, v1, v0
	ds_write2_b64 v0, v[40:41], v[48:49] offset1:3
	ds_write2_b64 v0, v[44:45], v[50:51] offset0:6 offset1:9
	ds_write2_b64 v0, v[46:47], v[52:53] offset0:12 offset1:15
.LBB0_25:
	s_or_b32 exec_lo, exec_lo, s1
	v_add_nc_u32_e32 v0, 0x800, v114
	v_add_nc_u32_e32 v1, 0x1000, v114
	;; [unrolled: 1-line block ×5, first 2 shown]
	s_waitcnt lgkmcnt(0)
	s_barrier
	buffer_gl0_inv
	ds_read2_b64 v[8:11], v0 offset0:32 offset1:140
	ds_read2_b64 v[0:3], v1 offset0:64 offset1:172
	;; [unrolled: 1-line block ×5, first 2 shown]
	ds_read_b64 v[54:55], v114
	ds_read_b64 v[56:57], v115
	v_lshl_add_u32 v118, v116, 3, 0
	s_and_saveexec_b32 s1, s0
	s_cbranch_execz .LBB0_27
; %bb.26:
	ds_read_b64 v[48:49], v114 offset:4032
	ds_read_b64 v[44:45], v114 offset:6336
	;; [unrolled: 1-line block ×4, first 2 shown]
	ds_read_b64 v[40:41], v118
	ds_read_b64 v[52:53], v114 offset:13248
.LBB0_27:
	s_or_b32 exec_lo, exec_lo, s1
	v_add_f64 v[125:126], v[86:87], v[20:21]
	v_add_f64 v[127:128], v[98:99], v[64:65]
	;; [unrolled: 1-line block ×3, first 2 shown]
	s_mov_b32 s4, 0xe8584caa
	s_mov_b32 s5, 0xbfebb67a
	v_add_f64 v[86:87], v[36:37], v[86:87]
	v_add_f64 v[84:85], v[84:85], -v[90:91]
	v_add_f64 v[62:63], v[72:73], v[62:63]
	v_mul_f64 v[72:73], v[108:109], -0.5
	v_add_f64 v[90:91], v[30:31], v[98:99]
	v_add_f64 v[34:35], v[34:35], v[68:69]
	;; [unrolled: 1-line block ×4, first 2 shown]
	v_mul_f64 v[70:71], v[102:103], s[4:5]
	v_add_f64 v[24:25], v[24:25], -v[42:43]
	v_mul_f64 v[42:43], v[106:107], -0.5
	v_mul_f64 v[98:99], v[104:105], s[4:5]
	v_add_f64 v[22:23], v[22:23], -v[26:27]
	v_mul_f64 v[26:27], v[96:97], -0.5
	v_mul_f64 v[94:95], v[94:95], s[4:5]
	s_mov_b32 s7, 0x3febb67a
	s_mov_b32 s6, s4
	v_fma_f64 v[36:37], v[125:126], -0.5, v[36:37]
	v_fma_f64 v[30:31], v[127:128], -0.5, v[30:31]
	;; [unrolled: 1-line block ×3, first 2 shown]
	s_waitcnt lgkmcnt(0)
	s_barrier
	v_add_f64 v[20:21], v[86:87], v[20:21]
	buffer_gl0_inv
	v_add_f64 v[58:59], v[62:63], v[58:59]
	v_fma_f64 v[62:63], v[88:89], s[4:5], v[72:73]
	v_add_f64 v[64:65], v[90:91], v[64:65]
	v_add_f64 v[34:35], v[34:35], v[60:61]
	;; [unrolled: 1-line block ×4, first 2 shown]
	v_fma_f64 v[60:61], v[78:79], 0.5, v[70:71]
	v_fma_f64 v[70:71], v[80:81], s[4:5], v[42:43]
	v_fma_f64 v[72:73], v[74:75], 0.5, v[98:99]
	v_fma_f64 v[26:27], v[82:83], s[4:5], v[26:27]
	v_fma_f64 v[66:67], v[84:85], s[4:5], v[36:37]
	;; [unrolled: 1-line block ×5, first 2 shown]
	v_fma_f64 v[30:31], v[76:77], 0.5, v[94:95]
	v_fma_f64 v[76:77], v[22:23], s[4:5], v[28:29]
	v_fma_f64 v[22:23], v[22:23], s[6:7], v[28:29]
	v_add_f64 v[28:29], v[20:21], v[58:59]
	v_add_f64 v[20:21], v[20:21], -v[58:59]
	v_add_f64 v[58:59], v[64:65], v[34:35]
	v_add_f64 v[34:35], v[64:65], -v[34:35]
	;; [unrolled: 2-line block ×3, first 2 shown]
	v_add_f64 v[32:33], v[66:67], v[60:61]
	v_add_f64 v[38:39], v[36:37], v[62:63]
	v_add_f64 v[60:61], v[66:67], -v[60:61]
	v_add_f64 v[36:37], v[36:37], -v[62:63]
	v_add_f64 v[80:81], v[24:25], v[70:71]
	v_add_f64 v[24:25], v[24:25], -v[70:71]
	v_add_f64 v[66:67], v[76:77], v[30:31]
	v_add_f64 v[62:63], v[22:23], v[26:27]
	v_add_f64 v[64:65], v[76:77], -v[30:31]
	v_add_f64 v[70:71], v[22:23], -v[26:27]
	v_add_f64 v[78:79], v[74:75], v[72:73]
	v_add_f64 v[72:73], v[74:75], -v[72:73]
	ds_write2_b64 v124, v[28:29], v[32:33] offset1:3
	ds_write2_b64 v124, v[38:39], v[20:21] offset0:6 offset1:9
	ds_write2_b64 v124, v[60:61], v[36:37] offset0:12 offset1:15
	ds_write2_b64 v123, v[58:59], v[78:79] offset1:3
	ds_write2_b64 v123, v[80:81], v[34:35] offset0:6 offset1:9
	ds_write2_b64 v123, v[72:73], v[24:25] offset0:12 offset1:15
	s_and_saveexec_b32 s1, s0
	s_cbranch_execz .LBB0_29
; %bb.28:
	v_mov_b32_e32 v20, 3
	v_lshlrev_b32_sdwa v21, v20, v121 dst_sel:DWORD dst_unused:UNUSED_PAD src0_sel:DWORD src1_sel:WORD_0
	v_lshlrev_b32_sdwa v20, v20, v122 dst_sel:DWORD dst_unused:UNUSED_PAD src0_sel:DWORD src1_sel:WORD_0
	v_add3_u32 v20, 0, v21, v20
	ds_write2_b64 v20, v[42:43], v[66:67] offset1:3
	ds_write2_b64 v20, v[62:63], v[68:69] offset0:6 offset1:9
	ds_write2_b64 v20, v[64:65], v[70:71] offset0:12 offset1:15
.LBB0_29:
	s_or_b32 exec_lo, exec_lo, s1
	v_add_nc_u32_e32 v20, 0x800, v114
	v_add_nc_u32_e32 v21, 0x1000, v114
	;; [unrolled: 1-line block ×5, first 2 shown]
	s_waitcnt lgkmcnt(0)
	s_barrier
	buffer_gl0_inv
	ds_read2_b64 v[28:31], v20 offset0:32 offset1:140
	ds_read2_b64 v[20:23], v21 offset0:64 offset1:172
	ds_read2_b64 v[32:35], v24 offset0:96 offset1:204
	ds_read2_b64 v[24:27], v25 offset0:128 offset1:236
	ds_read2_b64 v[36:39], v36 offset0:32 offset1:140
	ds_read_b64 v[60:61], v114
	ds_read_b64 v[58:59], v115
	s_and_saveexec_b32 s1, s0
	s_cbranch_execz .LBB0_31
; %bb.30:
	ds_read_b64 v[66:67], v114 offset:4032
	ds_read_b64 v[62:63], v114 offset:6336
	;; [unrolled: 1-line block ×4, first 2 shown]
	ds_read_b64 v[42:43], v118
	ds_read_b64 v[70:71], v114 offset:13248
.LBB0_31:
	s_or_b32 exec_lo, exec_lo, s1
	v_mul_lo_u16 v72, v120, 57
	v_mul_lo_u16 v73, v119, 57
	v_mov_b32_e32 v107, 5
	v_mov_b32_e32 v94, 0xe38f
	s_mov_b32 s4, 0xe8584caa
	v_lshrrev_b16 v109, 10, v72
	v_lshrrev_b16 v155, 10, v73
	s_mov_b32 s5, 0x3febb67a
	v_mul_u32_u24_sdwa v94, v116, v94 dst_sel:DWORD dst_unused:UNUSED_PAD src0_sel:WORD_0 src1_sel:DWORD
	s_mov_b32 s7, 0xbfebb67a
	v_mul_lo_u16 v72, v109, 18
	v_mul_lo_u16 v73, v155, 18
	s_mov_b32 s6, s4
	v_lshrrev_b32_e32 v158, 20, v94
	v_sub_nc_u16 v156, v111, v72
	v_sub_nc_u16 v157, v117, v73
	v_mul_lo_u16 v94, v158, 18
	v_mul_u32_u24_sdwa v72, v156, v107 dst_sel:DWORD dst_unused:UNUSED_PAD src0_sel:BYTE_0 src1_sel:DWORD
	v_mul_u32_u24_sdwa v73, v157, v107 dst_sel:DWORD dst_unused:UNUSED_PAD src0_sel:BYTE_0 src1_sel:DWORD
	v_sub_nc_u16 v94, v116, v94
	v_lshlrev_b32_e32 v108, 4, v72
	v_lshlrev_b32_e32 v117, 4, v73
	s_clause 0x9
	global_load_dwordx4 v[72:75], v108, s[8:9] offset:272
	global_load_dwordx4 v[76:79], v117, s[8:9] offset:272
	;; [unrolled: 1-line block ×10, first 2 shown]
	v_mul_u32_u24_sdwa v107, v94, v107 dst_sel:DWORD dst_unused:UNUSED_PAD src0_sel:WORD_0 src1_sel:DWORD
	v_lshlrev_b32_e32 v107, 4, v107
	s_clause 0x4
	global_load_dwordx4 v[127:130], v107, s[8:9] offset:272
	global_load_dwordx4 v[131:134], v107, s[8:9] offset:304
	;; [unrolled: 1-line block ×5, first 2 shown]
	s_waitcnt vmcnt(0) lgkmcnt(0)
	s_barrier
	buffer_gl0_inv
	v_mul_f64 v[107:108], v[32:33], v[74:75]
	v_mul_f64 v[74:75], v[16:17], v[74:75]
	;; [unrolled: 1-line block ×12, first 2 shown]
	v_fma_f64 v[107:108], v[16:17], v[72:73], -v[107:108]
	v_fma_f64 v[32:33], v[32:33], v[72:73], v[74:75]
	v_fma_f64 v[16:17], v[36:37], v[80:81], v[147:148]
	v_fma_f64 v[36:37], v[12:13], v[80:81], -v[82:83]
	v_fma_f64 v[116:117], v[18:19], v[76:77], -v[116:117]
	v_fma_f64 v[18:19], v[34:35], v[76:77], v[78:79]
	v_fma_f64 v[12:13], v[38:39], v[84:85], v[149:150]
	v_fma_f64 v[84:85], v[14:15], v[84:85], -v[86:87]
	v_mul_f64 v[34:35], v[20:21], v[101:102]
	v_mul_f64 v[72:73], v[24:25], v[121:122]
	v_fma_f64 v[14:15], v[28:29], v[88:89], v[90:91]
	v_mul_f64 v[38:39], v[22:23], v[105:106]
	v_mul_f64 v[74:75], v[26:27], v[125:126]
	v_fma_f64 v[76:77], v[8:9], v[88:89], -v[151:152]
	v_fma_f64 v[8:9], v[30:31], v[95:96], v[97:98]
	v_fma_f64 v[28:29], v[10:11], v[95:96], -v[153:154]
	v_mul_f64 v[86:87], v[0:1], v[101:102]
	v_mul_f64 v[88:89], v[2:3], v[105:106]
	;; [unrolled: 1-line block ×8, first 2 shown]
	v_add_f64 v[78:79], v[32:33], v[16:17]
	v_add_f64 v[80:81], v[107:108], v[36:37]
	v_add_f64 v[129:130], v[107:108], -v[36:37]
	v_add_f64 v[125:126], v[32:33], -v[16:17]
	v_add_f64 v[30:31], v[18:19], v[12:13]
	v_add_f64 v[82:83], v[116:117], v[84:85]
	v_fma_f64 v[10:11], v[0:1], v[99:100], -v[34:35]
	v_fma_f64 v[4:5], v[4:5], v[119:120], -v[72:73]
	v_add_f64 v[151:152], v[116:117], -v[84:85]
	v_fma_f64 v[0:1], v[2:3], v[103:104], -v[38:39]
	v_fma_f64 v[2:3], v[6:7], v[123:124], -v[74:75]
	v_add_f64 v[133:134], v[18:19], -v[12:13]
	v_fma_f64 v[74:75], v[20:21], v[99:100], v[86:87]
	v_fma_f64 v[72:73], v[22:23], v[103:104], v[88:89]
	;; [unrolled: 1-line block ×4, first 2 shown]
	v_add_f64 v[88:89], v[76:77], v[107:108]
	v_fma_f64 v[22:23], v[68:69], v[127:128], v[101:102]
	v_mul_f64 v[107:108], v[62:63], v[141:142]
	v_fma_f64 v[20:21], v[70:71], v[131:132], v[121:122]
	v_fma_f64 v[147:148], v[78:79], -0.5, v[14:15]
	v_fma_f64 v[149:150], v[80:81], -0.5, v[76:77]
	v_fma_f64 v[80:81], v[50:51], v[127:128], -v[97:98]
	v_fma_f64 v[78:79], v[52:53], v[131:132], -v[105:106]
	v_fma_f64 v[30:31], v[30:31], -0.5, v[8:9]
	v_fma_f64 v[153:154], v[82:83], -0.5, v[28:29]
	v_mul_f64 v[82:83], v[66:67], v[137:138]
	v_mul_f64 v[137:138], v[48:49], v[137:138]
	v_add_f64 v[26:27], v[10:11], v[4:5]
	v_add_f64 v[90:91], v[56:57], v[0:1]
	;; [unrolled: 1-line block ×4, first 2 shown]
	v_mul_f64 v[116:117], v[44:45], v[141:142]
	v_mul_f64 v[119:120], v[64:65], v[145:146]
	v_mul_f64 v[121:122], v[46:47], v[145:146]
	v_add_f64 v[86:87], v[74:75], -v[34:35]
	v_add_f64 v[95:96], v[72:73], -v[6:7]
	v_add_f64 v[36:37], v[88:89], v[36:37]
	v_fma_f64 v[44:45], v[44:45], v[139:140], -v[107:108]
	v_add_f64 v[99:100], v[22:23], v[20:21]
	v_fma_f64 v[68:69], v[129:130], s[6:7], v[147:148]
	v_fma_f64 v[52:53], v[125:126], s[6:7], v[149:150]
	;; [unrolled: 1-line block ×3, first 2 shown]
	v_add_f64 v[97:98], v[80:81], v[78:79]
	v_fma_f64 v[50:51], v[151:152], s[6:7], v[30:31]
	v_fma_f64 v[38:39], v[133:134], s[6:7], v[153:154]
	v_fma_f64 v[82:83], v[48:49], v[135:136], -v[82:83]
	v_fma_f64 v[24:25], v[66:67], v[135:136], v[137:138]
	v_add_f64 v[48:49], v[54:55], v[10:11]
	v_fma_f64 v[26:27], v[26:27], -0.5, v[54:55]
	v_fma_f64 v[54:55], v[70:71], -0.5, v[56:57]
	v_fma_f64 v[70:71], v[129:130], s[4:5], v[147:148]
	v_fma_f64 v[66:67], v[133:134], s[4:5], v[153:154]
	;; [unrolled: 1-line block ×3, first 2 shown]
	v_add_f64 v[123:124], v[22:23], -v[20:21]
	v_add_f64 v[125:126], v[80:81], -v[78:79]
	v_add_f64 v[88:89], v[90:91], v[2:3]
	v_add_f64 v[28:29], v[28:29], v[84:85]
	v_fma_f64 v[46:47], v[46:47], v[143:144], -v[119:120]
	v_mov_b32_e32 v129, 0x360
	v_mul_f64 v[101:102], v[68:69], s[4:5]
	v_mul_f64 v[103:104], v[52:53], -0.5
	v_mul_f64 v[30:31], v[50:51], s[4:5]
	v_mul_f64 v[105:106], v[38:39], -0.5
	v_fma_f64 v[84:85], v[97:98], -0.5, v[82:83]
	v_fma_f64 v[90:91], v[99:100], -0.5, v[24:25]
	v_add_f64 v[48:49], v[48:49], v[4:5]
	v_fma_f64 v[97:98], v[86:87], s[4:5], v[26:27]
	v_fma_f64 v[86:87], v[86:87], s[6:7], v[26:27]
	;; [unrolled: 1-line block ×3, first 2 shown]
	v_mov_b32_e32 v65, 3
	v_add_f64 v[119:120], v[88:89], v[28:29]
	v_add_f64 v[88:89], v[88:89], -v[28:29]
	v_lshlrev_b32_sdwa v64, v65, v156 dst_sel:DWORD dst_unused:UNUSED_PAD src0_sel:DWORD src1_sel:BYTE_0
	v_fma_f64 v[99:100], v[76:77], 0.5, v[101:102]
	v_fma_f64 v[101:102], v[70:71], s[4:5], v[103:104]
	v_fma_f64 v[103:104], v[95:96], s[4:5], v[54:55]
	;; [unrolled: 1-line block ×3, first 2 shown]
	v_fma_f64 v[127:128], v[66:67], 0.5, v[30:31]
	v_fma_f64 v[105:106], v[56:57], s[4:5], v[105:106]
	v_fma_f64 v[54:55], v[62:63], v[139:140], v[116:117]
	;; [unrolled: 1-line block ×3, first 2 shown]
	v_add_f64 v[107:108], v[48:49], v[36:37]
	v_add_f64 v[116:117], v[48:49], -v[36:37]
	v_fma_f64 v[36:37], v[123:124], s[4:5], v[84:85]
	v_fma_f64 v[30:31], v[125:126], s[6:7], v[90:91]
	;; [unrolled: 1-line block ×3, first 2 shown]
	v_mul_u32_u24_sdwa v63, v109, v129 dst_sel:DWORD dst_unused:UNUSED_PAD src0_sel:WORD_0 src1_sel:DWORD
	v_mul_u32_u24_sdwa v90, v155, v129 dst_sel:DWORD dst_unused:UNUSED_PAD src0_sel:WORD_0 src1_sel:DWORD
	v_lshlrev_b32_sdwa v91, v65, v157 dst_sel:DWORD dst_unused:UNUSED_PAD src0_sel:DWORD src1_sel:BYTE_0
	v_mul_lo_u16 v62, 0x6c, v158
	v_add3_u32 v64, 0, v63, v64
	v_add3_u32 v63, 0, v90, v91
	v_add_f64 v[84:85], v[97:98], v[99:100]
	v_add_f64 v[121:122], v[86:87], v[101:102]
	v_add_f64 v[97:98], v[97:98], -v[99:100]
	v_add_f64 v[86:87], v[86:87], -v[101:102]
	v_add_f64 v[99:100], v[103:104], v[127:128]
	v_add_f64 v[101:102], v[95:96], v[105:106]
	v_add_f64 v[103:104], v[103:104], -v[127:128]
	v_add_f64 v[95:96], v[95:96], -v[105:106]
	ds_write2_b64 v64, v[107:108], v[84:85] offset1:18
	ds_write2_b64 v64, v[121:122], v[116:117] offset0:36 offset1:54
	ds_write2_b64 v64, v[97:98], v[86:87] offset0:72 offset1:90
	ds_write2_b64 v63, v[119:120], v[99:100] offset1:18
	ds_write2_b64 v63, v[101:102], v[88:89] offset0:36 offset1:54
	ds_write2_b64 v63, v[103:104], v[95:96] offset0:72 offset1:90
	s_and_saveexec_b32 s1, s0
	s_cbranch_execz .LBB0_33
; %bb.32:
	v_add_f64 v[84:85], v[44:45], v[46:47]
	v_add_f64 v[86:87], v[54:55], -v[26:27]
	v_mul_f64 v[88:89], v[28:29], -0.5
	v_add_f64 v[90:91], v[40:41], v[44:45]
	v_add_f64 v[80:81], v[82:83], v[80:81]
	v_mul_f64 v[82:83], v[30:31], s[4:5]
	v_fma_f64 v[40:41], v[84:85], -0.5, v[40:41]
	v_fma_f64 v[84:85], v[48:49], s[4:5], v[88:89]
	v_add_f64 v[88:89], v[90:91], v[46:47]
	v_add_f64 v[78:79], v[80:81], v[78:79]
	v_fma_f64 v[80:81], v[36:37], 0.5, v[82:83]
	v_fma_f64 v[82:83], v[86:87], s[6:7], v[40:41]
	v_fma_f64 v[40:41], v[86:87], s[4:5], v[40:41]
	v_add_f64 v[86:87], v[88:89], -v[78:79]
	v_add_f64 v[78:79], v[88:89], v[78:79]
	v_add_f64 v[88:89], v[82:83], -v[84:85]
	v_add_f64 v[90:91], v[40:41], v[80:81]
	v_add_f64 v[82:83], v[82:83], v[84:85]
	v_add_f64 v[40:41], v[40:41], -v[80:81]
	v_lshlrev_b32_sdwa v80, v65, v94 dst_sel:DWORD dst_unused:UNUSED_PAD src0_sel:DWORD src1_sel:WORD_0
	v_lshlrev_b32_sdwa v65, v65, v62 dst_sel:DWORD dst_unused:UNUSED_PAD src0_sel:DWORD src1_sel:WORD_0
	v_add3_u32 v65, 0, v80, v65
	ds_write2_b64 v65, v[78:79], v[90:91] offset1:18
	ds_write2_b64 v65, v[82:83], v[86:87] offset0:36 offset1:54
	ds_write2_b64 v65, v[40:41], v[88:89] offset0:72 offset1:90
.LBB0_33:
	s_or_b32 exec_lo, exec_lo, s1
	v_add_f64 v[40:41], v[74:75], v[34:35]
	v_add_f64 v[78:79], v[72:73], v[6:7]
	;; [unrolled: 1-line block ×3, first 2 shown]
	v_add_f64 v[4:5], v[10:11], -v[4:5]
	v_add_f64 v[10:11], v[14:15], v[32:33]
	v_mul_f64 v[14:15], v[76:77], s[6:7]
	v_add_f64 v[32:33], v[58:59], v[72:73]
	v_add_f64 v[8:9], v[8:9], v[18:19]
	v_mul_f64 v[18:19], v[70:71], -0.5
	v_add_f64 v[0:1], v[0:1], -v[2:3]
	v_mul_f64 v[2:3], v[66:67], s[6:7]
	v_mul_f64 v[56:57], v[56:57], -0.5
	v_lshl_add_u32 v96, v112, 3, 0
	v_lshl_add_u32 v97, v113, 3, 0
	;; [unrolled: 1-line block ×3, first 2 shown]
	v_add_nc_u32_e32 v76, 0x2800, v114
	s_waitcnt lgkmcnt(0)
	s_barrier
	buffer_gl0_inv
	ds_read_b64 v[82:83], v115
	ds_read_b64 v[84:85], v118
	v_add_nc_u32_e32 v77, 0x2c00, v114
	v_fma_f64 v[40:41], v[40:41], -0.5, v[60:61]
	v_fma_f64 v[58:59], v[78:79], -0.5, v[58:59]
	v_add_f64 v[34:35], v[74:75], v[34:35]
	v_add_nc_u32_e32 v75, 0x2000, v114
	v_add_f64 v[16:17], v[10:11], v[16:17]
	v_fma_f64 v[14:15], v[68:69], 0.5, v[14:15]
	v_add_f64 v[6:7], v[32:33], v[6:7]
	v_add_f64 v[12:13], v[8:9], v[12:13]
	v_fma_f64 v[18:19], v[52:53], s[6:7], v[18:19]
	v_fma_f64 v[38:39], v[38:39], s[6:7], v[56:57]
	;; [unrolled: 1-line block ×4, first 2 shown]
	v_fma_f64 v[40:41], v[50:51], 0.5, v[2:3]
	v_fma_f64 v[50:51], v[0:1], s[6:7], v[58:59]
	v_fma_f64 v[52:53], v[0:1], s[4:5], v[58:59]
	v_add_nc_u32_e32 v0, 0x1000, v114
	v_add_nc_u32_e32 v1, 0x1800, v114
	ds_read_b64 v[80:81], v114
	ds_read_b64 v[88:89], v96
	;; [unrolled: 1-line block ×3, first 2 shown]
	ds_read_b64 v[86:87], v98 offset:4320
	ds_read2_b64 v[8:11], v0 offset0:136 offset1:244
	ds_read2_b64 v[0:3], v1 offset0:96 offset1:204
	v_add_f64 v[56:57], v[34:35], v[16:17]
	v_add_f64 v[34:35], v[34:35], -v[16:17]
	v_add_f64 v[58:59], v[6:7], v[12:13]
	v_add_f64 v[60:61], v[6:7], -v[12:13]
	v_add_f64 v[65:66], v[32:33], v[14:15]
	v_add_f64 v[67:68], v[4:5], v[18:19]
	v_add_f64 v[32:33], v[32:33], -v[14:15]
	v_add_f64 v[69:70], v[4:5], -v[18:19]
	ds_read2_b64 v[16:19], v75 offset0:56 offset1:164
	ds_read2_b64 v[4:7], v76 offset0:16 offset1:124
	;; [unrolled: 1-line block ×3, first 2 shown]
	v_add_f64 v[71:72], v[50:51], v[40:41]
	v_add_f64 v[73:74], v[52:53], v[38:39]
	v_add_f64 v[40:41], v[50:51], -v[40:41]
	v_add_f64 v[38:39], v[52:53], -v[38:39]
	s_waitcnt lgkmcnt(0)
	s_barrier
	buffer_gl0_inv
	ds_write2_b64 v64, v[56:57], v[65:66] offset1:18
	ds_write2_b64 v64, v[67:68], v[34:35] offset0:36 offset1:54
	ds_write2_b64 v64, v[32:33], v[69:70] offset0:72 offset1:90
	ds_write2_b64 v63, v[58:59], v[71:72] offset1:18
	ds_write2_b64 v63, v[73:74], v[60:61] offset0:36 offset1:54
	ds_write2_b64 v63, v[40:41], v[38:39] offset0:72 offset1:90
	s_and_saveexec_b32 s1, s0
	s_cbranch_execz .LBB0_35
; %bb.34:
	v_add_f64 v[32:33], v[54:55], v[26:27]
	s_mov_b32 s4, 0xe8584caa
	s_mov_b32 s5, 0xbfebb67a
	v_add_f64 v[34:35], v[42:43], v[54:55]
	v_add_f64 v[38:39], v[44:45], -v[46:47]
	v_add_f64 v[22:23], v[24:25], v[22:23]
	v_mul_f64 v[24:25], v[48:49], -0.5
	v_mul_f64 v[36:37], v[36:37], s[4:5]
	s_mov_b32 s7, 0x3febb67a
	s_mov_b32 s6, s4
	v_fma_f64 v[32:33], v[32:33], -0.5, v[42:43]
	v_add_f64 v[26:27], v[34:35], v[26:27]
	v_add_f64 v[20:21], v[22:23], v[20:21]
	v_fma_f64 v[22:23], v[28:29], s[4:5], v[24:25]
	v_fma_f64 v[24:25], v[30:31], 0.5, v[36:37]
	v_fma_f64 v[28:29], v[38:39], s[4:5], v[32:33]
	v_fma_f64 v[30:31], v[38:39], s[6:7], v[32:33]
	v_add_f64 v[32:33], v[26:27], v[20:21]
	v_add_f64 v[20:21], v[26:27], -v[20:21]
	v_add_f64 v[26:27], v[28:29], v[24:25]
	v_add_f64 v[34:35], v[30:31], v[22:23]
	v_add_f64 v[24:25], v[28:29], -v[24:25]
	v_add_f64 v[22:23], v[30:31], -v[22:23]
	v_mov_b32_e32 v28, 3
	v_lshlrev_b32_sdwa v29, v28, v94 dst_sel:DWORD dst_unused:UNUSED_PAD src0_sel:DWORD src1_sel:WORD_0
	v_lshlrev_b32_sdwa v28, v28, v62 dst_sel:DWORD dst_unused:UNUSED_PAD src0_sel:DWORD src1_sel:WORD_0
	v_add3_u32 v28, 0, v29, v28
	ds_write2_b64 v28, v[32:33], v[26:27] offset1:18
	ds_write2_b64 v28, v[34:35], v[20:21] offset0:36 offset1:54
	ds_write2_b64 v28, v[24:25], v[22:23] offset0:72 offset1:90
.LBB0_35:
	s_or_b32 exec_lo, exec_lo, s1
	s_waitcnt lgkmcnt(0)
	s_barrier
	buffer_gl0_inv
	s_and_saveexec_b32 s0, vcc_lo
	s_cbranch_execz .LBB0_37
; %bb.36:
	v_mul_u32_u24_e32 v20, 15, v111
	v_add_nc_u32_e32 v101, 0x2000, v114
	v_add_nc_u32_e32 v102, 0x1000, v114
	v_mad_u64_u32 v[108:109], null, s2, v110, 0
	v_lshlrev_b32_e32 v64, 4, v20
	v_add_nc_u32_e32 v159, 0x6c, v110
	v_add_nc_u32_e32 v161, 0xd8, v110
	;; [unrolled: 1-line block ×4, first 2 shown]
	s_clause 0xe
	global_load_dwordx4 v[24:27], v64, s[8:9] offset:1824
	global_load_dwordx4 v[20:23], v64, s[8:9] offset:1840
	;; [unrolled: 1-line block ×15, first 2 shown]
	v_add_nc_u32_e32 v163, 0x1b0, v110
	v_add_nc_u32_e32 v164, 0x21c, v110
	ds_read_b64 v[94:95], v118
	ds_read_b64 v[119:120], v115
	v_add_nc_u32_e32 v99, 0x1800, v114
	v_add_nc_u32_e32 v100, 0x2800, v114
	ds_read_b64 v[121:122], v98 offset:4320
	ds_read_b64 v[123:124], v97
	ds_read_b64 v[125:126], v96
	;; [unrolled: 1-line block ×3, first 2 shown]
	ds_read2_b64 v[104:107], v101 offset0:56 offset1:164
	ds_read2_b64 v[111:114], v102 offset0:136 offset1:244
	;; [unrolled: 1-line block ×3, first 2 shown]
	v_add_nc_u32_e32 v165, 0x288, v110
	v_add_nc_u32_e32 v166, 0x2f4, v110
	v_mad_u64_u32 v[129:130], null, s2, v159, 0
	v_mad_u64_u32 v[131:132], null, s2, v161, 0
	;; [unrolled: 1-line block ×5, first 2 shown]
	v_mov_b32_e32 v96, v109
	v_add_nc_u32_e32 v167, 0x360, v110
	v_add_nc_u32_e32 v168, 0x3cc, v110
	v_mad_u64_u32 v[139:140], null, s2, v165, 0
	v_mad_u64_u32 v[141:142], null, s2, v166, 0
	v_add_nc_u32_e32 v169, 0x438, v110
	v_add_nc_u32_e32 v170, 0x4a4, v110
	;; [unrolled: 1-line block ×3, first 2 shown]
	v_mad_u64_u32 v[101:102], null, s3, v110, v[96:97]
	v_mov_b32_e32 v96, v130
	v_mov_b32_e32 v97, v132
	v_add_nc_u32_e32 v172, 0x57c, v110
	v_add_nc_u32_e32 v173, 0x5e8, v110
	v_mad_u64_u32 v[143:144], null, s2, v167, 0
	v_mov_b32_e32 v98, v134
	v_mad_u64_u32 v[145:146], null, s2, v168, 0
	v_add_nc_u32_e32 v174, 0x654, v110
	v_mad_u64_u32 v[147:148], null, s2, v169, 0
	v_mad_u64_u32 v[149:150], null, s2, v170, 0
	v_mov_b32_e32 v102, v136
	v_mov_b32_e32 v103, v138
	v_mad_u64_u32 v[151:152], null, s2, v171, 0
	v_mov_b32_e32 v109, v140
	v_mov_b32_e32 v110, v142
	v_mad_u64_u32 v[159:160], null, s3, v159, v[96:97]
	v_mad_u64_u32 v[153:154], null, s2, v172, 0
	;; [unrolled: 1-line block ×7, first 2 shown]
	v_mov_b32_e32 v130, v144
	s_waitcnt lgkmcnt(2)
	v_mad_u64_u32 v[163:164], null, s3, v164, v[103:104]
	v_mov_b32_e32 v132, v146
	v_mad_u64_u32 v[164:165], null, s3, v165, v[109:110]
	v_mov_b32_e32 v96, v148
	v_mov_b32_e32 v97, v150
	s_waitcnt lgkmcnt(1)
	v_mad_u64_u32 v[165:166], null, s3, v166, v[110:111]
	v_mov_b32_e32 v98, v152
	v_mov_b32_e32 v102, v154
	v_mad_u64_u32 v[166:167], null, s3, v167, v[130:131]
	v_mov_b32_e32 v103, v156
	v_mad_u64_u32 v[167:168], null, s3, v168, v[132:133]
	v_mad_u64_u32 v[168:169], null, s3, v169, v[96:97]
	v_mov_b32_e32 v109, v158
	v_mad_u64_u32 v[169:170], null, s3, v170, v[97:98]
	v_mad_u64_u32 v[170:171], null, s3, v171, v[98:99]
	;; [unrolled: 1-line block ×3, first 2 shown]
	v_mov_b32_e32 v130, v159
	v_mov_b32_e32 v132, v160
	;; [unrolled: 1-line block ×7, first 2 shown]
	v_mad_u64_u32 v[172:173], null, s3, v173, v[103:104]
	ds_read2_b64 v[96:99], v99 offset0:96 offset1:204
	v_mad_u64_u32 v[173:174], null, s3, v174, v[109:110]
	v_mov_b32_e32 v109, v101
	ds_read2_b64 v[100:103], v100 offset0:16 offset1:124
	v_mov_b32_e32 v144, v166
	v_mov_b32_e32 v146, v167
	;; [unrolled: 1-line block ×6, first 2 shown]
	v_lshlrev_b64 v[108:109], 4, v[108:109]
	v_add_co_u32 v92, vcc_lo, s12, v92
	v_add_co_ci_u32_e32 v93, vcc_lo, s13, v93, vcc_lo
	s_mov_b32 s4, 0x667f3bcd
	s_mov_b32 s5, 0x3fe6a09e
	;; [unrolled: 1-line block ×12, first 2 shown]
	v_mov_b32_e32 v156, v172
	s_waitcnt vmcnt(14)
	v_mul_f64 v[158:159], v[104:105], v[26:27]
	v_mul_f64 v[26:27], v[16:17], v[26:27]
	s_waitcnt vmcnt(13)
	v_mul_f64 v[160:161], v[106:107], v[22:23]
	v_mul_f64 v[22:23], v[18:19], v[22:23]
	;; [unrolled: 3-line block ×4, first 2 shown]
	s_waitcnt vmcnt(10)
	v_mul_f64 v[166:167], v[12:13], v[78:79]
	s_waitcnt lgkmcnt(2)
	v_mul_f64 v[78:79], v[115:116], v[78:79]
	s_waitcnt vmcnt(9)
	v_mul_f64 v[168:169], v[14:15], v[74:75]
	v_mul_f64 v[74:75], v[117:118], v[74:75]
	s_waitcnt vmcnt(8)
	v_mul_f64 v[170:171], v[94:95], v[70:71]
	v_mul_f64 v[70:71], v[84:85], v[70:71]
	s_waitcnt vmcnt(1) lgkmcnt(1)
	v_mul_f64 v[174:175], v[98:99], v[62:63]
	s_waitcnt vmcnt(0)
	v_mul_f64 v[176:177], v[6:7], v[66:67]
	v_fma_f64 v[16:17], v[16:17], v[24:25], -v[158:159]
	v_fma_f64 v[24:25], v[24:25], v[104:105], v[26:27]
	v_mul_f64 v[26:27], v[119:120], v[50:51]
	v_mul_f64 v[104:105], v[86:87], v[46:47]
	v_fma_f64 v[18:19], v[18:19], v[20:21], -v[160:161]
	v_mul_f64 v[158:159], v[123:124], v[38:39]
	v_mul_f64 v[160:161], v[125:126], v[58:59]
	v_fma_f64 v[20:21], v[20:21], v[106:107], v[22:23]
	v_mul_f64 v[22:23], v[0:1], v[54:55]
	s_waitcnt lgkmcnt(0)
	v_mul_f64 v[106:107], v[100:101], v[42:43]
	v_fma_f64 v[110:111], v[111:112], v[32:33], v[162:163]
	v_fma_f64 v[8:9], v[8:9], v[32:33], -v[34:35]
	v_mul_f64 v[32:33], v[88:89], v[58:59]
	v_mul_f64 v[34:35], v[82:83], v[50:51]
	v_fma_f64 v[50:51], v[113:114], v[28:29], v[164:165]
	v_mul_f64 v[58:59], v[2:3], v[62:63]
	v_mul_f64 v[46:47], v[121:122], v[46:47]
	v_fma_f64 v[10:11], v[10:11], v[28:29], -v[30:31]
	v_mul_f64 v[28:29], v[102:103], v[66:67]
	v_mul_f64 v[30:31], v[96:97], v[54:55]
	;; [unrolled: 1-line block ×4, first 2 shown]
	v_fma_f64 v[54:55], v[115:116], v[76:77], v[166:167]
	v_fma_f64 v[12:13], v[12:13], v[76:77], -v[78:79]
	v_fma_f64 v[62:63], v[117:118], v[72:73], v[168:169]
	v_fma_f64 v[14:15], v[14:15], v[72:73], -v[74:75]
	v_fma_f64 v[66:67], v[84:85], v[68:69], -v[170:171]
	v_fma_f64 v[68:69], v[68:69], v[94:95], v[70:71]
	v_fma_f64 v[26:27], v[82:83], v[48:49], -v[26:27]
	;; [unrolled: 3-line block ×3, first 2 shown]
	v_fma_f64 v[72:73], v[121:122], v[44:45], v[104:105]
	v_fma_f64 v[74:75], v[88:89], v[56:57], -v[160:161]
	v_fma_f64 v[2:3], v[2:3], v[60:61], -v[174:175]
	v_fma_f64 v[76:77], v[102:103], v[64:65], v[176:177]
	v_fma_f64 v[32:33], v[56:57], v[125:126], v[32:33]
	;; [unrolled: 1-line block ×4, first 2 shown]
	v_fma_f64 v[44:45], v[86:87], v[44:45], -v[46:47]
	v_fma_f64 v[6:7], v[6:7], v[64:65], -v[28:29]
	;; [unrolled: 1-line block ×3, first 2 shown]
	v_fma_f64 v[28:29], v[36:37], v[123:124], v[38:39]
	v_fma_f64 v[30:31], v[40:41], v[100:101], v[42:43]
	v_add_f64 v[52:53], v[110:111], -v[54:55]
	v_add_f64 v[12:13], v[8:9], -v[12:13]
	;; [unrolled: 1-line block ×6, first 2 shown]
	v_add_co_u32 v90, vcc_lo, v92, v108
	v_add_f64 v[22:23], v[127:128], -v[22:23]
	v_add_f64 v[4:5], v[70:71], -v[4:5]
	v_add_co_ci_u32_e32 v91, vcc_lo, v93, v109, vcc_lo
	v_add_f64 v[2:3], v[26:27], -v[2:3]
	v_add_f64 v[54:55], v[72:73], -v[76:77]
	;; [unrolled: 1-line block ×5, first 2 shown]
	v_lshlrev_b64 v[36:37], 4, v[129:130]
	v_add_f64 v[6:7], v[44:45], -v[6:7]
	v_add_f64 v[0:1], v[80:81], -v[0:1]
	v_lshlrev_b64 v[38:39], 4, v[131:132]
	v_add_f64 v[30:31], v[28:29], -v[30:31]
	v_lshlrev_b64 v[40:41], 4, v[133:134]
	v_fma_f64 v[8:9], v[8:9], 2.0, -v[12:13]
	v_lshlrev_b64 v[42:43], 4, v[135:136]
	v_fma_f64 v[10:11], v[10:11], 2.0, -v[14:15]
	v_add_f64 v[94:95], v[16:17], -v[52:53]
	v_add_f64 v[98:99], v[24:25], v[12:13]
	v_fma_f64 v[52:53], v[110:111], 2.0, -v[52:53]
	v_lshlrev_b64 v[46:47], 4, v[137:138]
	v_fma_f64 v[112:113], v[127:128], 2.0, -v[22:23]
	v_add_f64 v[96:97], v[22:23], v[4:5]
	v_fma_f64 v[4:5], v[70:71], 2.0, -v[4:5]
	v_lshlrev_b64 v[58:59], 4, v[139:140]
	v_fma_f64 v[12:13], v[26:27], 2.0, -v[2:3]
	v_add_f64 v[100:101], v[2:3], -v[54:55]
	v_add_f64 v[102:103], v[18:19], -v[56:57]
	v_add_f64 v[104:105], v[20:21], v[14:15]
	v_fma_f64 v[26:27], v[32:33], 2.0, -v[20:21]
	v_fma_f64 v[32:33], v[50:51], 2.0, -v[56:57]
	v_add_f64 v[106:107], v[48:49], v[6:7]
	v_fma_f64 v[6:7], v[44:45], 2.0, -v[6:7]
	v_fma_f64 v[34:35], v[34:35], 2.0, -v[48:49]
	v_add_f64 v[108:109], v[0:1], -v[30:31]
	v_fma_f64 v[28:29], v[28:29], 2.0, -v[30:31]
	v_fma_f64 v[30:31], v[66:67], 2.0, -v[16:17]
	;; [unrolled: 1-line block ×8, first 2 shown]
	v_add_co_u32 v66, vcc_lo, v92, v36
	v_fma_f64 v[22:23], v[22:23], 2.0, -v[96:97]
	v_add_co_ci_u32_e32 v67, vcc_lo, v93, v37, vcc_lo
	v_fma_f64 v[2:3], v[2:3], 2.0, -v[100:101]
	v_fma_f64 v[18:19], v[18:19], 2.0, -v[102:103]
	;; [unrolled: 1-line block ×3, first 2 shown]
	v_add_co_u32 v72, vcc_lo, v92, v38
	v_fma_f64 v[48:49], v[48:49], 2.0, -v[106:107]
	v_fma_f64 v[36:37], v[98:99], s[4:5], v[96:97]
	v_fma_f64 v[56:57], v[102:103], s[4:5], v[100:101]
	v_fma_f64 v[0:1], v[0:1], 2.0, -v[108:109]
	v_fma_f64 v[68:69], v[104:105], s[4:5], v[106:107]
	v_add_f64 v[28:29], v[112:113], -v[28:29]
	v_add_f64 v[6:7], v[12:13], -v[6:7]
	;; [unrolled: 1-line block ×8, first 2 shown]
	v_fma_f64 v[70:71], v[94:95], s[4:5], v[108:109]
	v_add_co_ci_u32_e32 v73, vcc_lo, v93, v39, vcc_lo
	v_fma_f64 v[38:39], v[24:25], s[0:1], v[22:23]
	v_add_co_u32 v114, vcc_lo, v92, v40
	v_fma_f64 v[74:75], v[18:19], s[0:1], v[2:3]
	v_add_co_ci_u32_e32 v115, vcc_lo, v93, v41, vcc_lo
	v_fma_f64 v[80:81], v[20:21], s[0:1], v[48:49]
	v_fma_f64 v[36:37], v[94:95], s[4:5], v[36:37]
	;; [unrolled: 1-line block ×5, first 2 shown]
	v_fma_f64 v[56:57], v[112:113], 2.0, -v[28:29]
	v_fma_f64 v[12:13], v[12:13], 2.0, -v[6:7]
	;; [unrolled: 1-line block ×8, first 2 shown]
	v_fma_f64 v[70:71], v[98:99], s[0:1], v[70:71]
	v_add_f64 v[94:95], v[8:9], v[28:29]
	v_add_f64 v[10:11], v[54:55], v[10:11]
	v_fma_f64 v[98:99], v[16:17], s[4:5], v[38:39]
	v_add_f64 v[8:9], v[6:7], -v[32:33]
	v_add_f64 v[52:53], v[4:5], -v[52:53]
	v_fma_f64 v[16:17], v[20:21], s[0:1], v[74:75]
	v_lshlrev_b64 v[60:61], 4, v[141:142]
	v_lshlrev_b64 v[62:63], 4, v[143:144]
	v_fma_f64 v[18:19], v[18:19], s[4:5], v[80:81]
	v_add_co_u32 v80, vcc_lo, v92, v42
	v_fma_f64 v[74:75], v[24:25], s[0:1], v[110:111]
	v_add_co_ci_u32_e32 v81, vcc_lo, v93, v43, vcc_lo
	v_add_co_u32 v102, vcc_lo, v92, v46
	v_add_co_ci_u32_e32 v103, vcc_lo, v93, v47, vcc_lo
	v_add_f64 v[42:43], v[56:57], -v[50:51]
	v_add_f64 v[20:21], v[12:13], -v[44:45]
	;; [unrolled: 1-line block ×4, first 2 shown]
	v_fma_f64 v[46:47], v[96:97], 2.0, -v[36:37]
	v_fma_f64 v[32:33], v[106:107], 2.0, -v[68:69]
	;; [unrolled: 1-line block ×12, first 2 shown]
	v_add_co_u32 v108, vcc_lo, v92, v58
	v_add_co_ci_u32_e32 v109, vcc_lo, v93, v59, vcc_lo
	v_add_co_u32 v110, vcc_lo, v92, v60
	v_add_co_ci_u32_e32 v111, vcc_lo, v93, v61, vcc_lo
	v_fma_f64 v[0:1], v[68:69], s[12:13], v[36:37]
	v_fma_f64 v[4:5], v[40:41], s[12:13], v[70:71]
	v_fma_f64 v[6:7], v[10:11], s[4:5], v[94:95]
	v_fma_f64 v[22:23], v[8:9], s[4:5], v[52:53]
	v_fma_f64 v[58:59], v[16:17], s[8:9], v[74:75]
	v_fma_f64 v[60:61], v[32:33], s[10:11], v[46:47]
	v_fma_f64 v[56:57], v[56:57], 2.0, -v[42:43]
	v_fma_f64 v[34:35], v[34:35], 2.0, -v[24:25]
	;; [unrolled: 1-line block ×4, first 2 shown]
	v_fma_f64 v[116:117], v[38:39], s[0:1], v[50:51]
	v_fma_f64 v[124:125], v[48:49], s[6:7], v[104:105]
	;; [unrolled: 1-line block ×6, first 2 shown]
	v_lshlrev_b64 v[64:65], 4, v[145:146]
	v_lshlrev_b64 v[76:77], 4, v[147:148]
	v_add_co_u32 v128, vcc_lo, v92, v62
	v_add_co_ci_u32_e32 v129, vcc_lo, v93, v63, vcc_lo
	v_fma_f64 v[2:3], v[40:41], s[8:9], v[0:1]
	v_fma_f64 v[0:1], v[68:69], s[10:11], v[4:5]
	;; [unrolled: 1-line block ×4, first 2 shown]
	v_add_f64 v[8:9], v[44:45], -v[24:25]
	v_fma_f64 v[12:13], v[18:19], s[6:7], v[58:59]
	v_fma_f64 v[18:19], v[26:27], s[12:13], v[60:61]
	v_add_f64 v[26:27], v[56:57], -v[34:35]
	v_add_f64 v[10:11], v[42:43], v[20:21]
	v_add_f64 v[24:25], v[120:121], -v[122:123]
	v_fma_f64 v[22:23], v[28:29], s[4:5], v[116:117]
	v_fma_f64 v[30:31], v[30:31], s[8:9], v[124:125]
	;; [unrolled: 1-line block ×6, first 2 shown]
	v_lshlrev_b64 v[78:79], 4, v[149:150]
	v_add_co_u32 v64, vcc_lo, v92, v64
	v_add_co_ci_u32_e32 v65, vcc_lo, v93, v65, vcc_lo
	v_lshlrev_b64 v[82:83], 4, v[151:152]
	v_fma_f64 v[34:35], v[36:37], 2.0, -v[2:3]
	v_add_co_u32 v68, vcc_lo, v92, v76
	v_fma_f64 v[36:37], v[52:53], 2.0, -v[4:5]
	v_fma_f64 v[40:41], v[44:45], 2.0, -v[8:9]
	;; [unrolled: 1-line block ×14, first 2 shown]
	v_add_co_ci_u32_e32 v69, vcc_lo, v93, v77, vcc_lo
	v_fma_f64 v[32:33], v[70:71], 2.0, -v[0:1]
	v_lshlrev_b64 v[84:85], 4, v[153:154]
	v_add_co_u32 v76, vcc_lo, v92, v78
	v_mov_b32_e32 v158, v173
	v_add_co_ci_u32_e32 v77, vcc_lo, v93, v79, vcc_lo
	v_lshlrev_b64 v[86:87], 4, v[155:156]
	v_add_co_u32 v70, vcc_lo, v92, v82
	v_add_co_ci_u32_e32 v71, vcc_lo, v93, v83, vcc_lo
	v_lshlrev_b64 v[88:89], 4, v[157:158]
	v_add_co_u32 v74, vcc_lo, v92, v84
	v_add_co_ci_u32_e32 v75, vcc_lo, v93, v85, vcc_lo
	v_add_co_u32 v78, vcc_lo, v92, v86
	v_add_co_ci_u32_e32 v79, vcc_lo, v93, v87, vcc_lo
	;; [unrolled: 2-line block ×3, first 2 shown]
	global_store_dwordx4 v[90:91], v[52:55], off
	global_store_dwordx4 v[66:67], v[56:59], off
	;; [unrolled: 1-line block ×16, first 2 shown]
.LBB0_37:
	s_endpgm
	.section	.rodata,"a",@progbits
	.p2align	6, 0x0
	.amdhsa_kernel fft_rtc_fwd_len1728_factors_3_6_6_16_wgs_108_tpt_108_halfLds_dp_ip_CI_sbrr_dirReg
		.amdhsa_group_segment_fixed_size 0
		.amdhsa_private_segment_fixed_size 0
		.amdhsa_kernarg_size 88
		.amdhsa_user_sgpr_count 6
		.amdhsa_user_sgpr_private_segment_buffer 1
		.amdhsa_user_sgpr_dispatch_ptr 0
		.amdhsa_user_sgpr_queue_ptr 0
		.amdhsa_user_sgpr_kernarg_segment_ptr 1
		.amdhsa_user_sgpr_dispatch_id 0
		.amdhsa_user_sgpr_flat_scratch_init 0
		.amdhsa_user_sgpr_private_segment_size 0
		.amdhsa_wavefront_size32 1
		.amdhsa_uses_dynamic_stack 0
		.amdhsa_system_sgpr_private_segment_wavefront_offset 0
		.amdhsa_system_sgpr_workgroup_id_x 1
		.amdhsa_system_sgpr_workgroup_id_y 0
		.amdhsa_system_sgpr_workgroup_id_z 0
		.amdhsa_system_sgpr_workgroup_info 0
		.amdhsa_system_vgpr_workitem_id 0
		.amdhsa_next_free_vgpr 178
		.amdhsa_next_free_sgpr 23
		.amdhsa_reserve_vcc 1
		.amdhsa_reserve_flat_scratch 0
		.amdhsa_float_round_mode_32 0
		.amdhsa_float_round_mode_16_64 0
		.amdhsa_float_denorm_mode_32 3
		.amdhsa_float_denorm_mode_16_64 3
		.amdhsa_dx10_clamp 1
		.amdhsa_ieee_mode 1
		.amdhsa_fp16_overflow 0
		.amdhsa_workgroup_processor_mode 1
		.amdhsa_memory_ordered 1
		.amdhsa_forward_progress 0
		.amdhsa_shared_vgpr_count 0
		.amdhsa_exception_fp_ieee_invalid_op 0
		.amdhsa_exception_fp_denorm_src 0
		.amdhsa_exception_fp_ieee_div_zero 0
		.amdhsa_exception_fp_ieee_overflow 0
		.amdhsa_exception_fp_ieee_underflow 0
		.amdhsa_exception_fp_ieee_inexact 0
		.amdhsa_exception_int_div_zero 0
	.end_amdhsa_kernel
	.text
.Lfunc_end0:
	.size	fft_rtc_fwd_len1728_factors_3_6_6_16_wgs_108_tpt_108_halfLds_dp_ip_CI_sbrr_dirReg, .Lfunc_end0-fft_rtc_fwd_len1728_factors_3_6_6_16_wgs_108_tpt_108_halfLds_dp_ip_CI_sbrr_dirReg
                                        ; -- End function
	.section	.AMDGPU.csdata,"",@progbits
; Kernel info:
; codeLenInByte = 11984
; NumSgprs: 25
; NumVgprs: 178
; ScratchSize: 0
; MemoryBound: 1
; FloatMode: 240
; IeeeMode: 1
; LDSByteSize: 0 bytes/workgroup (compile time only)
; SGPRBlocks: 3
; VGPRBlocks: 22
; NumSGPRsForWavesPerEU: 25
; NumVGPRsForWavesPerEU: 178
; Occupancy: 5
; WaveLimiterHint : 1
; COMPUTE_PGM_RSRC2:SCRATCH_EN: 0
; COMPUTE_PGM_RSRC2:USER_SGPR: 6
; COMPUTE_PGM_RSRC2:TRAP_HANDLER: 0
; COMPUTE_PGM_RSRC2:TGID_X_EN: 1
; COMPUTE_PGM_RSRC2:TGID_Y_EN: 0
; COMPUTE_PGM_RSRC2:TGID_Z_EN: 0
; COMPUTE_PGM_RSRC2:TIDIG_COMP_CNT: 0
	.text
	.p2alignl 6, 3214868480
	.fill 48, 4, 3214868480
	.type	__hip_cuid_7e0cde81a91cda14,@object ; @__hip_cuid_7e0cde81a91cda14
	.section	.bss,"aw",@nobits
	.globl	__hip_cuid_7e0cde81a91cda14
__hip_cuid_7e0cde81a91cda14:
	.byte	0                               ; 0x0
	.size	__hip_cuid_7e0cde81a91cda14, 1

	.ident	"AMD clang version 19.0.0git (https://github.com/RadeonOpenCompute/llvm-project roc-6.4.0 25133 c7fe45cf4b819c5991fe208aaa96edf142730f1d)"
	.section	".note.GNU-stack","",@progbits
	.addrsig
	.addrsig_sym __hip_cuid_7e0cde81a91cda14
	.amdgpu_metadata
---
amdhsa.kernels:
  - .args:
      - .actual_access:  read_only
        .address_space:  global
        .offset:         0
        .size:           8
        .value_kind:     global_buffer
      - .offset:         8
        .size:           8
        .value_kind:     by_value
      - .actual_access:  read_only
        .address_space:  global
        .offset:         16
        .size:           8
        .value_kind:     global_buffer
      - .actual_access:  read_only
        .address_space:  global
        .offset:         24
        .size:           8
        .value_kind:     global_buffer
      - .offset:         32
        .size:           8
        .value_kind:     by_value
      - .actual_access:  read_only
        .address_space:  global
        .offset:         40
        .size:           8
        .value_kind:     global_buffer
      - .actual_access:  read_only
        .address_space:  global
        .offset:         48
        .size:           8
        .value_kind:     global_buffer
      - .offset:         56
        .size:           4
        .value_kind:     by_value
      - .actual_access:  read_only
        .address_space:  global
        .offset:         64
        .size:           8
        .value_kind:     global_buffer
      - .actual_access:  read_only
        .address_space:  global
        .offset:         72
        .size:           8
        .value_kind:     global_buffer
      - .address_space:  global
        .offset:         80
        .size:           8
        .value_kind:     global_buffer
    .group_segment_fixed_size: 0
    .kernarg_segment_align: 8
    .kernarg_segment_size: 88
    .language:       OpenCL C
    .language_version:
      - 2
      - 0
    .max_flat_workgroup_size: 108
    .name:           fft_rtc_fwd_len1728_factors_3_6_6_16_wgs_108_tpt_108_halfLds_dp_ip_CI_sbrr_dirReg
    .private_segment_fixed_size: 0
    .sgpr_count:     25
    .sgpr_spill_count: 0
    .symbol:         fft_rtc_fwd_len1728_factors_3_6_6_16_wgs_108_tpt_108_halfLds_dp_ip_CI_sbrr_dirReg.kd
    .uniform_work_group_size: 1
    .uses_dynamic_stack: false
    .vgpr_count:     178
    .vgpr_spill_count: 0
    .wavefront_size: 32
    .workgroup_processor_mode: 1
amdhsa.target:   amdgcn-amd-amdhsa--gfx1030
amdhsa.version:
  - 1
  - 2
...

	.end_amdgpu_metadata
